;; amdgpu-corpus repo=ROCm/rocFFT kind=compiled arch=gfx1100 opt=O3
	.text
	.amdgcn_target "amdgcn-amd-amdhsa--gfx1100"
	.amdhsa_code_object_version 6
	.protected	fft_rtc_fwd_len4000_factors_10_10_10_4_wgs_200_tpt_200_halfLds_sp_op_CI_CI_sbrr_dirReg ; -- Begin function fft_rtc_fwd_len4000_factors_10_10_10_4_wgs_200_tpt_200_halfLds_sp_op_CI_CI_sbrr_dirReg
	.globl	fft_rtc_fwd_len4000_factors_10_10_10_4_wgs_200_tpt_200_halfLds_sp_op_CI_CI_sbrr_dirReg
	.p2align	8
	.type	fft_rtc_fwd_len4000_factors_10_10_10_4_wgs_200_tpt_200_halfLds_sp_op_CI_CI_sbrr_dirReg,@function
fft_rtc_fwd_len4000_factors_10_10_10_4_wgs_200_tpt_200_halfLds_sp_op_CI_CI_sbrr_dirReg: ; @fft_rtc_fwd_len4000_factors_10_10_10_4_wgs_200_tpt_200_halfLds_sp_op_CI_CI_sbrr_dirReg
; %bb.0:
	s_clause 0x2
	s_load_b128 s[16:19], s[0:1], 0x18
	s_load_b128 s[8:11], s[0:1], 0x0
	;; [unrolled: 1-line block ×3, first 2 shown]
	v_mul_u32_u24_e32 v1, 0x148, v0
	v_mov_b32_e32 v5, 0
	v_mov_b32_e32 v39, 0
	;; [unrolled: 1-line block ×3, first 2 shown]
	s_waitcnt lgkmcnt(0)
	s_load_b64 s[20:21], s[16:17], 0x0
	s_load_b64 s[12:13], s[18:19], 0x0
	v_lshrrev_b32_e32 v1, 16, v1
	v_cmp_lt_u64_e64 s2, s[10:11], 2
	s_delay_alu instid0(VALU_DEP_2) | instskip(NEXT) | instid1(VALU_DEP_2)
	v_dual_mov_b32 v8, v5 :: v_dual_add_nc_u32 v7, s15, v1
	s_and_b32 vcc_lo, exec_lo, s2
	s_cbranch_vccnz .LBB0_8
; %bb.1:
	s_load_b64 s[2:3], s[0:1], 0x10
	v_mov_b32_e32 v39, 0
	v_mov_b32_e32 v40, 0
	s_add_u32 s14, s18, 8
	s_addc_u32 s15, s19, 0
	s_add_u32 s22, s16, 8
	s_delay_alu instid0(VALU_DEP_1)
	v_dual_mov_b32 v1, v39 :: v_dual_mov_b32 v2, v40
	s_addc_u32 s23, s17, 0
	s_mov_b64 s[26:27], 1
	s_waitcnt lgkmcnt(0)
	s_add_u32 s24, s2, 8
	s_addc_u32 s25, s3, 0
.LBB0_2:                                ; =>This Inner Loop Header: Depth=1
	s_load_b64 s[28:29], s[24:25], 0x0
                                        ; implicit-def: $vgpr3_vgpr4
	s_mov_b32 s2, exec_lo
	s_waitcnt lgkmcnt(0)
	v_or_b32_e32 v6, s29, v8
	s_delay_alu instid0(VALU_DEP_1)
	v_cmpx_ne_u64_e32 0, v[5:6]
	s_xor_b32 s3, exec_lo, s2
	s_cbranch_execz .LBB0_4
; %bb.3:                                ;   in Loop: Header=BB0_2 Depth=1
	v_cvt_f32_u32_e32 v3, s28
	v_cvt_f32_u32_e32 v4, s29
	s_sub_u32 s2, 0, s28
	s_subb_u32 s30, 0, s29
	s_delay_alu instid0(VALU_DEP_1) | instskip(NEXT) | instid1(VALU_DEP_1)
	v_fmac_f32_e32 v3, 0x4f800000, v4
	v_rcp_f32_e32 v3, v3
	s_waitcnt_depctr 0xfff
	v_mul_f32_e32 v3, 0x5f7ffffc, v3
	s_delay_alu instid0(VALU_DEP_1) | instskip(NEXT) | instid1(VALU_DEP_1)
	v_mul_f32_e32 v4, 0x2f800000, v3
	v_trunc_f32_e32 v4, v4
	s_delay_alu instid0(VALU_DEP_1) | instskip(SKIP_1) | instid1(VALU_DEP_2)
	v_fmac_f32_e32 v3, 0xcf800000, v4
	v_cvt_u32_f32_e32 v4, v4
	v_cvt_u32_f32_e32 v3, v3
	s_delay_alu instid0(VALU_DEP_2) | instskip(NEXT) | instid1(VALU_DEP_2)
	v_mul_lo_u32 v6, s2, v4
	v_mul_hi_u32 v9, s2, v3
	v_mul_lo_u32 v10, s30, v3
	s_delay_alu instid0(VALU_DEP_2) | instskip(SKIP_1) | instid1(VALU_DEP_2)
	v_add_nc_u32_e32 v6, v9, v6
	v_mul_lo_u32 v9, s2, v3
	v_add_nc_u32_e32 v6, v6, v10
	s_delay_alu instid0(VALU_DEP_2) | instskip(NEXT) | instid1(VALU_DEP_2)
	v_mul_hi_u32 v10, v3, v9
	v_mul_lo_u32 v11, v3, v6
	v_mul_hi_u32 v12, v3, v6
	v_mul_hi_u32 v13, v4, v9
	v_mul_lo_u32 v9, v4, v9
	v_mul_hi_u32 v14, v4, v6
	v_mul_lo_u32 v6, v4, v6
	v_add_co_u32 v10, vcc_lo, v10, v11
	v_add_co_ci_u32_e32 v11, vcc_lo, 0, v12, vcc_lo
	s_delay_alu instid0(VALU_DEP_2) | instskip(NEXT) | instid1(VALU_DEP_2)
	v_add_co_u32 v9, vcc_lo, v10, v9
	v_add_co_ci_u32_e32 v9, vcc_lo, v11, v13, vcc_lo
	v_add_co_ci_u32_e32 v10, vcc_lo, 0, v14, vcc_lo
	s_delay_alu instid0(VALU_DEP_2) | instskip(NEXT) | instid1(VALU_DEP_2)
	v_add_co_u32 v6, vcc_lo, v9, v6
	v_add_co_ci_u32_e32 v9, vcc_lo, 0, v10, vcc_lo
	s_delay_alu instid0(VALU_DEP_2) | instskip(NEXT) | instid1(VALU_DEP_2)
	v_add_co_u32 v3, vcc_lo, v3, v6
	v_add_co_ci_u32_e32 v4, vcc_lo, v4, v9, vcc_lo
	s_delay_alu instid0(VALU_DEP_2) | instskip(SKIP_1) | instid1(VALU_DEP_3)
	v_mul_hi_u32 v6, s2, v3
	v_mul_lo_u32 v10, s30, v3
	v_mul_lo_u32 v9, s2, v4
	s_delay_alu instid0(VALU_DEP_1) | instskip(SKIP_1) | instid1(VALU_DEP_2)
	v_add_nc_u32_e32 v6, v6, v9
	v_mul_lo_u32 v9, s2, v3
	v_add_nc_u32_e32 v6, v6, v10
	s_delay_alu instid0(VALU_DEP_2) | instskip(NEXT) | instid1(VALU_DEP_2)
	v_mul_hi_u32 v10, v3, v9
	v_mul_lo_u32 v11, v3, v6
	v_mul_hi_u32 v12, v3, v6
	v_mul_hi_u32 v13, v4, v9
	v_mul_lo_u32 v9, v4, v9
	v_mul_hi_u32 v14, v4, v6
	v_mul_lo_u32 v6, v4, v6
	v_add_co_u32 v10, vcc_lo, v10, v11
	v_add_co_ci_u32_e32 v11, vcc_lo, 0, v12, vcc_lo
	s_delay_alu instid0(VALU_DEP_2) | instskip(NEXT) | instid1(VALU_DEP_2)
	v_add_co_u32 v9, vcc_lo, v10, v9
	v_add_co_ci_u32_e32 v9, vcc_lo, v11, v13, vcc_lo
	v_add_co_ci_u32_e32 v10, vcc_lo, 0, v14, vcc_lo
	s_delay_alu instid0(VALU_DEP_2) | instskip(NEXT) | instid1(VALU_DEP_2)
	v_add_co_u32 v6, vcc_lo, v9, v6
	v_add_co_ci_u32_e32 v9, vcc_lo, 0, v10, vcc_lo
	s_delay_alu instid0(VALU_DEP_2) | instskip(NEXT) | instid1(VALU_DEP_2)
	v_add_co_u32 v6, vcc_lo, v3, v6
	v_add_co_ci_u32_e32 v13, vcc_lo, v4, v9, vcc_lo
	s_delay_alu instid0(VALU_DEP_2) | instskip(SKIP_1) | instid1(VALU_DEP_3)
	v_mul_hi_u32 v14, v7, v6
	v_mad_u64_u32 v[9:10], null, v8, v6, 0
	v_mad_u64_u32 v[3:4], null, v7, v13, 0
	;; [unrolled: 1-line block ×3, first 2 shown]
	s_delay_alu instid0(VALU_DEP_2) | instskip(NEXT) | instid1(VALU_DEP_3)
	v_add_co_u32 v3, vcc_lo, v14, v3
	v_add_co_ci_u32_e32 v4, vcc_lo, 0, v4, vcc_lo
	s_delay_alu instid0(VALU_DEP_2) | instskip(NEXT) | instid1(VALU_DEP_2)
	v_add_co_u32 v3, vcc_lo, v3, v9
	v_add_co_ci_u32_e32 v3, vcc_lo, v4, v10, vcc_lo
	v_add_co_ci_u32_e32 v4, vcc_lo, 0, v12, vcc_lo
	s_delay_alu instid0(VALU_DEP_2) | instskip(NEXT) | instid1(VALU_DEP_2)
	v_add_co_u32 v6, vcc_lo, v3, v11
	v_add_co_ci_u32_e32 v9, vcc_lo, 0, v4, vcc_lo
	s_delay_alu instid0(VALU_DEP_2) | instskip(SKIP_1) | instid1(VALU_DEP_3)
	v_mul_lo_u32 v10, s29, v6
	v_mad_u64_u32 v[3:4], null, s28, v6, 0
	v_mul_lo_u32 v11, s28, v9
	s_delay_alu instid0(VALU_DEP_2) | instskip(NEXT) | instid1(VALU_DEP_2)
	v_sub_co_u32 v3, vcc_lo, v7, v3
	v_add3_u32 v4, v4, v11, v10
	s_delay_alu instid0(VALU_DEP_1) | instskip(NEXT) | instid1(VALU_DEP_1)
	v_sub_nc_u32_e32 v10, v8, v4
	v_subrev_co_ci_u32_e64 v10, s2, s29, v10, vcc_lo
	v_add_co_u32 v11, s2, v6, 2
	s_delay_alu instid0(VALU_DEP_1) | instskip(SKIP_3) | instid1(VALU_DEP_3)
	v_add_co_ci_u32_e64 v12, s2, 0, v9, s2
	v_sub_co_u32 v13, s2, v3, s28
	v_sub_co_ci_u32_e32 v4, vcc_lo, v8, v4, vcc_lo
	v_subrev_co_ci_u32_e64 v10, s2, 0, v10, s2
	v_cmp_le_u32_e32 vcc_lo, s28, v13
	s_delay_alu instid0(VALU_DEP_3) | instskip(SKIP_1) | instid1(VALU_DEP_4)
	v_cmp_eq_u32_e64 s2, s29, v4
	v_cndmask_b32_e64 v13, 0, -1, vcc_lo
	v_cmp_le_u32_e32 vcc_lo, s29, v10
	v_cndmask_b32_e64 v14, 0, -1, vcc_lo
	v_cmp_le_u32_e32 vcc_lo, s28, v3
	;; [unrolled: 2-line block ×3, first 2 shown]
	v_cndmask_b32_e64 v15, 0, -1, vcc_lo
	v_cmp_eq_u32_e32 vcc_lo, s29, v10
	s_delay_alu instid0(VALU_DEP_2) | instskip(SKIP_3) | instid1(VALU_DEP_3)
	v_cndmask_b32_e64 v3, v15, v3, s2
	v_cndmask_b32_e32 v10, v14, v13, vcc_lo
	v_add_co_u32 v13, vcc_lo, v6, 1
	v_add_co_ci_u32_e32 v14, vcc_lo, 0, v9, vcc_lo
	v_cmp_ne_u32_e32 vcc_lo, 0, v10
	s_delay_alu instid0(VALU_DEP_2) | instskip(NEXT) | instid1(VALU_DEP_4)
	v_cndmask_b32_e32 v4, v14, v12, vcc_lo
	v_cndmask_b32_e32 v10, v13, v11, vcc_lo
	v_cmp_ne_u32_e32 vcc_lo, 0, v3
	s_delay_alu instid0(VALU_DEP_2)
	v_dual_cndmask_b32 v4, v9, v4 :: v_dual_cndmask_b32 v3, v6, v10
.LBB0_4:                                ;   in Loop: Header=BB0_2 Depth=1
	s_and_not1_saveexec_b32 s2, s3
	s_cbranch_execz .LBB0_6
; %bb.5:                                ;   in Loop: Header=BB0_2 Depth=1
	v_cvt_f32_u32_e32 v3, s28
	s_sub_i32 s3, 0, s28
	s_delay_alu instid0(VALU_DEP_1) | instskip(SKIP_2) | instid1(VALU_DEP_1)
	v_rcp_iflag_f32_e32 v3, v3
	s_waitcnt_depctr 0xfff
	v_mul_f32_e32 v3, 0x4f7ffffe, v3
	v_cvt_u32_f32_e32 v3, v3
	s_delay_alu instid0(VALU_DEP_1) | instskip(NEXT) | instid1(VALU_DEP_1)
	v_mul_lo_u32 v4, s3, v3
	v_mul_hi_u32 v4, v3, v4
	s_delay_alu instid0(VALU_DEP_1) | instskip(NEXT) | instid1(VALU_DEP_1)
	v_add_nc_u32_e32 v3, v3, v4
	v_mul_hi_u32 v3, v7, v3
	s_delay_alu instid0(VALU_DEP_1) | instskip(SKIP_1) | instid1(VALU_DEP_2)
	v_mul_lo_u32 v4, v3, s28
	v_add_nc_u32_e32 v6, 1, v3
	v_sub_nc_u32_e32 v4, v7, v4
	s_delay_alu instid0(VALU_DEP_1) | instskip(SKIP_1) | instid1(VALU_DEP_2)
	v_subrev_nc_u32_e32 v9, s28, v4
	v_cmp_le_u32_e32 vcc_lo, s28, v4
	v_dual_cndmask_b32 v4, v4, v9 :: v_dual_cndmask_b32 v3, v3, v6
	s_delay_alu instid0(VALU_DEP_1) | instskip(SKIP_1) | instid1(VALU_DEP_3)
	v_cmp_le_u32_e32 vcc_lo, s28, v4
	v_mov_b32_e32 v4, v5
	v_add_nc_u32_e32 v6, 1, v3
	s_delay_alu instid0(VALU_DEP_1)
	v_cndmask_b32_e32 v3, v3, v6, vcc_lo
.LBB0_6:                                ;   in Loop: Header=BB0_2 Depth=1
	s_or_b32 exec_lo, exec_lo, s2
	s_delay_alu instid0(VALU_DEP_1) | instskip(NEXT) | instid1(VALU_DEP_2)
	v_mul_lo_u32 v6, v4, s28
	v_mul_lo_u32 v11, v3, s29
	s_load_b64 s[2:3], s[22:23], 0x0
	v_mad_u64_u32 v[9:10], null, v3, s28, 0
	s_load_b64 s[28:29], s[14:15], 0x0
	s_add_u32 s26, s26, 1
	s_addc_u32 s27, s27, 0
	s_add_u32 s14, s14, 8
	s_addc_u32 s15, s15, 0
	s_add_u32 s22, s22, 8
	s_delay_alu instid0(VALU_DEP_1) | instskip(SKIP_3) | instid1(VALU_DEP_2)
	v_add3_u32 v6, v10, v11, v6
	v_sub_co_u32 v10, vcc_lo, v7, v9
	s_addc_u32 s23, s23, 0
	s_add_u32 s24, s24, 8
	v_sub_co_ci_u32_e32 v8, vcc_lo, v8, v6, vcc_lo
	s_addc_u32 s25, s25, 0
	s_waitcnt lgkmcnt(0)
	s_delay_alu instid0(VALU_DEP_1)
	v_mul_lo_u32 v11, s2, v8
	v_mul_lo_u32 v12, s3, v10
	v_mad_u64_u32 v[6:7], null, s2, v10, v[39:40]
	v_mul_lo_u32 v13, s28, v8
	v_mul_lo_u32 v14, s29, v10
	v_mad_u64_u32 v[8:9], null, s28, v10, v[1:2]
	v_cmp_ge_u64_e64 s2, s[26:27], s[10:11]
	v_add3_u32 v40, v12, v7, v11
	v_mov_b32_e32 v39, v6
	s_delay_alu instid0(VALU_DEP_4)
	v_add3_u32 v2, v14, v9, v13
	v_mov_b32_e32 v1, v8
	s_and_b32 vcc_lo, exec_lo, s2
	s_cbranch_vccnz .LBB0_9
; %bb.7:                                ;   in Loop: Header=BB0_2 Depth=1
	v_dual_mov_b32 v8, v4 :: v_dual_mov_b32 v7, v3
	s_branch .LBB0_2
.LBB0_8:
	v_dual_mov_b32 v1, v39 :: v_dual_mov_b32 v2, v40
	s_delay_alu instid0(VALU_DEP_2)
	v_dual_mov_b32 v3, v7 :: v_dual_mov_b32 v4, v8
.LBB0_9:
	s_load_b64 s[0:1], s[0:1], 0x28
	v_mul_hi_u32 v5, 0x147ae15, v0
	s_lshl_b64 s[10:11], s[10:11], 3
                                        ; implicit-def: $vgpr46
                                        ; implicit-def: $vgpr48
                                        ; implicit-def: $vgpr47
                                        ; implicit-def: $vgpr49
                                        ; implicit-def: $vgpr50
	s_delay_alu instid0(SALU_CYCLE_1) | instskip(SKIP_4) | instid1(VALU_DEP_1)
	s_add_u32 s2, s18, s10
	s_addc_u32 s3, s19, s11
	s_waitcnt lgkmcnt(0)
	v_cmp_gt_u64_e32 vcc_lo, s[0:1], v[3:4]
	v_cmp_le_u64_e64 s0, s[0:1], v[3:4]
	s_and_saveexec_b32 s1, s0
	s_delay_alu instid0(SALU_CYCLE_1)
	s_xor_b32 s0, exec_lo, s1
; %bb.10:
	v_mul_u32_u24_e32 v5, 0xc8, v5
                                        ; implicit-def: $vgpr39_vgpr40
	s_delay_alu instid0(VALU_DEP_1) | instskip(NEXT) | instid1(VALU_DEP_1)
	v_sub_nc_u32_e32 v46, v0, v5
                                        ; implicit-def: $vgpr5
                                        ; implicit-def: $vgpr0
	v_add_nc_u32_e32 v48, 0xc8, v46
	v_add_nc_u32_e32 v47, 0x190, v46
	v_add_nc_u32_e32 v49, 0x320, v46
	v_add_nc_u32_e32 v50, 0x258, v46
; %bb.11:
	s_or_saveexec_b32 s1, s0
                                        ; implicit-def: $vgpr10
                                        ; implicit-def: $vgpr12
                                        ; implicit-def: $vgpr36
                                        ; implicit-def: $vgpr41
                                        ; implicit-def: $vgpr24
                                        ; implicit-def: $vgpr43
                                        ; implicit-def: $vgpr45
                                        ; implicit-def: $vgpr38
                                        ; implicit-def: $vgpr6
                                        ; implicit-def: $vgpr28
                                        ; implicit-def: $vgpr18
                                        ; implicit-def: $vgpr30
                                        ; implicit-def: $vgpr32
                                        ; implicit-def: $vgpr16
                                        ; implicit-def: $vgpr34
                                        ; implicit-def: $vgpr14
                                        ; implicit-def: $vgpr20
                                        ; implicit-def: $vgpr8
                                        ; implicit-def: $vgpr26
                                        ; implicit-def: $vgpr22
	s_delay_alu instid0(SALU_CYCLE_1)
	s_xor_b32 exec_lo, exec_lo, s1
	s_cbranch_execz .LBB0_13
; %bb.12:
	v_mul_u32_u24_e32 v5, 0xc8, v5
	s_add_u32 s10, s16, s10
	s_addc_u32 s11, s17, s11
	s_load_b64 s[10:11], s[10:11], 0x0
	s_delay_alu instid0(VALU_DEP_1) | instskip(SKIP_1) | instid1(VALU_DEP_2)
	v_sub_nc_u32_e32 v46, v0, v5
	v_lshlrev_b64 v[5:6], 3, v[39:40]
	v_mad_u64_u32 v[7:8], null, s20, v46, 0
	v_add_nc_u32_e32 v47, 0x190, v46
	v_add_nc_u32_e32 v24, 0x640, v46
	v_add_nc_u32_e32 v28, 0x960, v46
	v_add_nc_u32_e32 v48, 0xc8, v46
	v_add_nc_u32_e32 v50, 0x258, v46
	v_add_nc_u32_e32 v34, 0x578, v46
	v_mov_b32_e32 v0, v8
	v_mad_u64_u32 v[9:10], null, s20, v47, 0
	v_add_nc_u32_e32 v49, 0x320, v46
	v_add_nc_u32_e32 v56, 0xd48, v46
	s_delay_alu instid0(VALU_DEP_4)
	v_mad_u64_u32 v[17:18], null, s21, v46, v[0:1]
	s_waitcnt lgkmcnt(0)
	v_mul_lo_u32 v8, s11, v3
	v_mul_lo_u32 v20, s10, v4
	v_mov_b32_e32 v0, v10
	v_mad_u64_u32 v[11:12], null, s20, v49, 0
	v_mad_u64_u32 v[13:14], null, s10, v3, 0
	v_add_nc_u32_e32 v23, 0x4b0, v46
	v_mad_u64_u32 v[18:19], null, s20, v24, 0
	s_delay_alu instid0(VALU_DEP_4) | instskip(NEXT) | instid1(VALU_DEP_3)
	v_dual_mov_b32 v10, v12 :: v_dual_add_nc_u32 v29, 0xaf0, v46
	v_mad_u64_u32 v[15:16], null, s20, v23, 0
	v_add3_u32 v14, v14, v20, v8
	v_mad_u64_u32 v[20:21], null, s21, v47, v[0:1]
	v_dual_mov_b32 v8, v17 :: v_dual_add_nc_u32 v51, 0x708, v46
	s_delay_alu instid0(VALU_DEP_3) | instskip(SKIP_4) | instid1(VALU_DEP_4)
	v_lshlrev_b64 v[13:14], 3, v[13:14]
	v_mov_b32_e32 v12, v16
	v_mad_u64_u32 v[16:17], null, s21, v49, v[10:11]
	v_mov_b32_e32 v10, v20
	v_lshlrev_b64 v[7:8], 3, v[7:8]
	v_mad_u64_u32 v[21:22], null, s21, v23, v[12:13]
	v_add_co_u32 v0, s0, s4, v13
	s_delay_alu instid0(VALU_DEP_1) | instskip(SKIP_1) | instid1(VALU_DEP_3)
	v_add_co_ci_u32_e64 v12, s0, s5, v14, s0
	v_add_nc_u32_e32 v22, 0x7d0, v46
	v_add_co_u32 v39, s0, v0, v5
	v_mov_b32_e32 v0, v19
	s_delay_alu instid0(VALU_DEP_4) | instskip(SKIP_2) | instid1(VALU_DEP_4)
	v_add_co_ci_u32_e64 v60, s0, v12, v6, s0
	v_mov_b32_e32 v12, v16
	v_mov_b32_e32 v16, v21
	v_mad_u64_u32 v[13:14], null, s21, v24, v[0:1]
	v_lshlrev_b64 v[5:6], 3, v[9:10]
	s_delay_alu instid0(VALU_DEP_4) | instskip(NEXT) | instid1(VALU_DEP_4)
	v_lshlrev_b64 v[9:10], 3, v[11:12]
	v_lshlrev_b64 v[11:12], 3, v[15:16]
	v_mad_u64_u32 v[14:15], null, s20, v22, 0
	v_add_co_u32 v7, s0, v39, v7
	s_delay_alu instid0(VALU_DEP_1) | instskip(SKIP_1) | instid1(VALU_DEP_4)
	v_add_co_ci_u32_e64 v8, s0, v60, v8, s0
	v_add_co_u32 v5, s0, v39, v5
	v_mov_b32_e32 v0, v15
	v_add_co_ci_u32_e64 v6, s0, v60, v6, s0
	v_mad_u64_u32 v[23:24], null, s20, v28, 0
	v_add_co_u32 v16, s0, v39, v9
	s_delay_alu instid0(VALU_DEP_1)
	v_add_co_ci_u32_e64 v17, s0, v60, v10, s0
	v_add_co_u32 v20, s0, v39, v11
	v_mad_u64_u32 v[25:26], null, s21, v22, v[0:1]
	v_mad_u64_u32 v[26:27], null, s20, v29, 0
	v_add_co_ci_u32_e64 v21, s0, v60, v12, s0
	s_clause 0x3
	global_load_b64 v[9:10], v[7:8], off
	global_load_b64 v[11:12], v[5:6], off
	global_load_b64 v[35:36], v[16:17], off
	global_load_b64 v[21:22], v[20:21], off
	v_mov_b32_e32 v0, v24
	v_dual_mov_b32 v19, v13 :: v_dual_add_nc_u32 v20, 0xc80, v46
	v_mov_b32_e32 v15, v25
	s_delay_alu instid0(VALU_DEP_3) | instskip(SKIP_1) | instid1(VALU_DEP_4)
	v_mad_u64_u32 v[7:8], null, s21, v28, v[0:1]
	v_mov_b32_e32 v0, v27
	v_mad_u64_u32 v[16:17], null, s20, v20, 0
	v_lshlrev_b64 v[5:6], 3, v[18:19]
	v_lshlrev_b64 v[13:14], 3, v[14:15]
	s_delay_alu instid0(VALU_DEP_4)
	v_mad_u64_u32 v[18:19], null, s21, v29, v[0:1]
	v_mov_b32_e32 v24, v7
	v_mad_u64_u32 v[29:30], null, s20, v48, 0
	v_mov_b32_e32 v0, v17
	v_add_co_u32 v5, s0, v39, v5
	v_mov_b32_e32 v27, v18
	v_add_co_ci_u32_e64 v6, s0, v60, v6, s0
	s_delay_alu instid0(VALU_DEP_4) | instskip(SKIP_2) | instid1(VALU_DEP_1)
	v_mad_u64_u32 v[17:18], null, s21, v20, v[0:1]
	v_add_nc_u32_e32 v20, 0xe10, v46
	v_add_co_u32 v7, s0, v39, v13
	v_add_co_ci_u32_e64 v8, s0, v60, v14, s0
	v_lshlrev_b64 v[13:14], 3, v[23:24]
	v_lshlrev_b64 v[18:19], 3, v[26:27]
	v_mad_u64_u32 v[27:28], null, s20, v20, 0
	v_lshlrev_b64 v[15:16], 3, v[16:17]
	v_mov_b32_e32 v17, v30
	v_add_co_u32 v13, s0, v39, v13
	s_delay_alu instid0(VALU_DEP_1) | instskip(SKIP_2) | instid1(VALU_DEP_1)
	v_add_co_ci_u32_e64 v14, s0, v60, v14, s0
	v_mov_b32_e32 v0, v28
	v_add_co_u32 v18, s0, v39, v18
	v_add_co_ci_u32_e64 v19, s0, v60, v19, s0
	s_delay_alu instid0(VALU_DEP_3) | instskip(NEXT) | instid1(VALU_DEP_3)
	v_mad_u64_u32 v[30:31], null, s21, v20, v[0:1]
	v_mad_u64_u32 v[31:32], null, s21, v48, v[17:18]
	;; [unrolled: 1-line block ×3, first 2 shown]
	s_clause 0x3
	global_load_b64 v[40:41], v[5:6], off
	global_load_b64 v[23:24], v[7:8], off
	;; [unrolled: 1-line block ×4, first 2 shown]
	v_add_co_u32 v5, s0, v39, v15
	v_mov_b32_e32 v28, v30
	v_dual_mov_b32 v30, v31 :: v_dual_add_nc_u32 v31, 0x3e8, v46
	v_mov_b32_e32 v0, v33
	v_add_co_ci_u32_e64 v6, s0, v60, v16, s0
	v_mad_u64_u32 v[19:20], null, s20, v34, 0
	s_delay_alu instid0(VALU_DEP_3) | instskip(SKIP_3) | instid1(VALU_DEP_4)
	v_mad_u64_u32 v[13:14], null, s21, v50, v[0:1]
	v_mad_u64_u32 v[16:17], null, s20, v31, 0
	v_lshlrev_b64 v[7:8], 3, v[27:28]
	v_lshlrev_b64 v[14:15], 3, v[29:30]
	v_mov_b32_e32 v33, v13
	s_delay_alu instid0(VALU_DEP_4) | instskip(NEXT) | instid1(VALU_DEP_4)
	v_mov_b32_e32 v0, v17
	v_add_co_u32 v7, s0, v39, v7
	s_delay_alu instid0(VALU_DEP_3) | instskip(SKIP_1) | instid1(VALU_DEP_4)
	v_lshlrev_b64 v[17:18], 3, v[32:33]
	v_add_co_ci_u32_e64 v8, s0, v60, v8, s0
	v_mad_u64_u32 v[27:28], null, s21, v31, v[0:1]
	v_mov_b32_e32 v0, v20
	v_mad_u64_u32 v[30:31], null, s20, v51, 0
	v_add_co_u32 v13, s0, v39, v14
	s_delay_alu instid0(VALU_DEP_1)
	v_add_co_ci_u32_e64 v14, s0, v60, v15, s0
	v_add_co_u32 v28, s0, v39, v17
	v_mad_u64_u32 v[32:33], null, s21, v34, v[0:1]
	v_add_co_ci_u32_e64 v29, s0, v60, v18, s0
	v_mov_b32_e32 v17, v27
	v_mov_b32_e32 v0, v31
	s_clause 0x3
	global_load_b64 v[44:45], v[5:6], off
	global_load_b64 v[37:38], v[7:8], off
	;; [unrolled: 1-line block ×4, first 2 shown]
	v_dual_mov_b32 v20, v32 :: v_dual_add_nc_u32 v29, 0x898, v46
	v_lshlrev_b64 v[13:14], 3, v[16:17]
	v_mad_u64_u32 v[15:16], null, s21, v51, v[0:1]
	s_delay_alu instid0(VALU_DEP_3) | instskip(NEXT) | instid1(VALU_DEP_4)
	v_mad_u64_u32 v[16:17], null, s20, v29, 0
	v_lshlrev_b64 v[18:19], 3, v[19:20]
	v_add_nc_u32_e32 v20, 0xa28, v46
	v_add_co_u32 v13, s0, v39, v13
	v_mov_b32_e32 v31, v15
	v_dual_mov_b32 v0, v17 :: v_dual_add_nc_u32 v15, 0xbb8, v46
	s_delay_alu instid0(VALU_DEP_4) | instskip(SKIP_1) | instid1(VALU_DEP_3)
	v_mad_u64_u32 v[27:28], null, s20, v20, 0
	v_add_co_ci_u32_e64 v14, s0, v60, v14, s0
	v_mad_u64_u32 v[32:33], null, s21, v29, v[0:1]
	s_delay_alu instid0(VALU_DEP_4) | instskip(NEXT) | instid1(VALU_DEP_4)
	v_mad_u64_u32 v[33:34], null, s20, v15, 0
	v_mov_b32_e32 v0, v28
	v_lshlrev_b64 v[28:29], 3, v[30:31]
	v_add_co_u32 v18, s0, v39, v18
	v_mov_b32_e32 v17, v32
	s_delay_alu instid0(VALU_DEP_4) | instskip(SKIP_4) | instid1(VALU_DEP_4)
	v_mad_u64_u32 v[30:31], null, s21, v20, v[0:1]
	v_mov_b32_e32 v0, v34
	v_add_nc_u32_e32 v20, 0xed8, v46
	v_mad_u64_u32 v[31:32], null, s20, v56, 0
	v_add_co_ci_u32_e64 v19, s0, v60, v19, s0
	v_mad_u64_u32 v[51:52], null, s21, v15, v[0:1]
	s_delay_alu instid0(VALU_DEP_4) | instskip(NEXT) | instid1(VALU_DEP_4)
	v_mad_u64_u32 v[52:53], null, s20, v20, 0
	v_mov_b32_e32 v0, v32
	v_add_co_u32 v54, s0, v39, v28
	s_delay_alu instid0(VALU_DEP_1) | instskip(SKIP_1) | instid1(VALU_DEP_4)
	v_add_co_ci_u32_e64 v55, s0, v60, v29, s0
	v_mov_b32_e32 v28, v30
	v_mad_u64_u32 v[29:30], null, s21, v56, v[0:1]
	v_mov_b32_e32 v0, v53
	v_lshlrev_b64 v[15:16], 3, v[16:17]
	v_mov_b32_e32 v34, v51
	v_lshlrev_b64 v[27:28], 3, v[27:28]
	s_delay_alu instid0(VALU_DEP_4) | instskip(NEXT) | instid1(VALU_DEP_4)
	v_mad_u64_u32 v[56:57], null, s21, v20, v[0:1]
	v_add_co_u32 v15, s0, v39, v15
	v_mov_b32_e32 v32, v29
	v_add_co_ci_u32_e64 v16, s0, v60, v16, s0
	v_lshlrev_b64 v[33:34], 3, v[33:34]
	v_mov_b32_e32 v53, v56
	v_add_co_u32 v57, s0, v39, v27
	s_delay_alu instid0(VALU_DEP_1) | instskip(SKIP_4) | instid1(VALU_DEP_4)
	v_add_co_ci_u32_e64 v58, s0, v60, v28, s0
	v_lshlrev_b64 v[27:28], 3, v[31:32]
	v_add_co_u32 v33, s0, v39, v33
	v_lshlrev_b64 v[29:30], 3, v[52:53]
	v_add_co_ci_u32_e64 v34, s0, v60, v34, s0
	v_add_co_u32 v51, s0, v39, v27
	s_delay_alu instid0(VALU_DEP_1) | instskip(NEXT) | instid1(VALU_DEP_4)
	v_add_co_ci_u32_e64 v52, s0, v60, v28, s0
	v_add_co_u32 v59, s0, v39, v29
	s_delay_alu instid0(VALU_DEP_1)
	v_add_co_ci_u32_e64 v60, s0, v60, v30, s0
	s_clause 0x7
	global_load_b64 v[27:28], v[13:14], off
	global_load_b64 v[17:18], v[18:19], off
	;; [unrolled: 1-line block ×8, first 2 shown]
.LBB0_13:
	s_or_b32 exec_lo, exec_lo, s1
	s_waitcnt vmcnt(13)
	v_dual_add_f32 v0, v40, v42 :: v_dual_add_f32 v39, v9, v35
	s_waitcnt vmcnt(11)
	v_dual_sub_f32 v51, v36, v45 :: v_dual_sub_f32 v52, v41, v43
	v_dual_sub_f32 v53, v35, v40 :: v_dual_sub_f32 v54, v44, v42
	s_delay_alu instid0(VALU_DEP_3) | instskip(SKIP_3) | instid1(VALU_DEP_3)
	v_fma_f32 v0, -0.5, v0, v9
	v_add_f32_e32 v55, v35, v44
	s_load_b64 s[2:3], s[2:3], 0x0
	v_cmp_gt_u32_e64 s0, 0x64, v46
	v_dual_sub_f32 v57, v40, v35 :: v_dual_fmamk_f32 v56, v51, 0x3f737871, v0
	v_dual_add_f32 v53, v53, v54 :: v_dual_fmac_f32 v0, 0xbf737871, v51
	v_dual_fmac_f32 v9, -0.5, v55 :: v_dual_sub_f32 v54, v42, v44
	s_delay_alu instid0(VALU_DEP_3) | instskip(SKIP_3) | instid1(VALU_DEP_3)
	v_fmac_f32_e32 v56, 0x3f167918, v52
	v_add_f32_e32 v39, v39, v40
	v_sub_f32_e32 v35, v35, v44
	v_dual_fmac_f32 v0, 0xbf167918, v52 :: v_dual_add_f32 v59, v41, v43
	v_dual_fmac_f32 v56, 0x3e9e377a, v53 :: v_dual_add_f32 v39, v39, v42
	v_fmamk_f32 v55, v52, 0xbf737871, v9
	v_dual_fmac_f32 v9, 0x3f737871, v52 :: v_dual_sub_f32 v40, v40, v42
	v_add_f32_e32 v54, v57, v54
	s_delay_alu instid0(VALU_DEP_4) | instskip(SKIP_4) | instid1(VALU_DEP_4)
	v_add_f32_e32 v58, v39, v44
	v_add_f32_e32 v39, v10, v36
	v_dual_fmac_f32 v55, 0x3f167918, v51 :: v_dual_add_f32 v44, v36, v45
	v_fmac_f32_e32 v0, 0x3e9e377a, v53
	v_fma_f32 v57, -0.5, v59, v10
	v_dual_add_f32 v39, v39, v41 :: v_dual_sub_f32 v52, v45, v43
	s_delay_alu instid0(VALU_DEP_4) | instskip(SKIP_1) | instid1(VALU_DEP_3)
	v_dual_fmac_f32 v55, 0x3e9e377a, v54 :: v_dual_fmac_f32 v10, -0.5, v44
	v_fmac_f32_e32 v9, 0xbf167918, v51
	v_dual_add_f32 v39, v39, v43 :: v_dual_sub_f32 v42, v36, v41
	v_dual_sub_f32 v36, v41, v36 :: v_dual_sub_f32 v41, v43, v45
	s_delay_alu instid0(VALU_DEP_3) | instskip(NEXT) | instid1(VALU_DEP_3)
	v_fmac_f32_e32 v9, 0x3e9e377a, v54
	v_add_f32_e32 v53, v39, v45
	s_delay_alu instid0(VALU_DEP_4) | instskip(SKIP_3) | instid1(VALU_DEP_3)
	v_dual_add_f32 v39, v42, v52 :: v_dual_fmamk_f32 v52, v40, 0x3f737871, v10
	v_add_f32_e32 v42, v23, v25
	v_dual_fmac_f32 v10, 0xbf737871, v40 :: v_dual_fmamk_f32 v51, v35, 0xbf737871, v57
	v_dual_add_f32 v36, v36, v41 :: v_dual_fmac_f32 v57, 0x3f737871, v35
	v_fma_f32 v41, -0.5, v42, v11
	s_waitcnt vmcnt(10)
	s_delay_alu instid0(VALU_DEP_3) | instskip(SKIP_4) | instid1(VALU_DEP_3)
	v_dual_sub_f32 v42, v22, v38 :: v_dual_fmac_f32 v51, 0xbf167918, v40
	v_fmac_f32_e32 v52, 0xbf167918, v35
	v_dual_fmac_f32 v57, 0x3f167918, v40 :: v_dual_add_f32 v40, v11, v21
	v_dual_fmac_f32 v10, 0x3f167918, v35 :: v_dual_add_f32 v45, v37, v21
	v_sub_f32_e32 v43, v21, v23
	v_dual_sub_f32 v44, v37, v25 :: v_dual_add_f32 v35, v23, v40
	s_delay_alu instid0(VALU_DEP_4) | instskip(NEXT) | instid1(VALU_DEP_4)
	v_dual_sub_f32 v40, v24, v26 :: v_dual_fmac_f32 v57, 0x3e9e377a, v39
	v_fmac_f32_e32 v11, -0.5, v45
	v_dual_fmac_f32 v51, 0x3e9e377a, v39 :: v_dual_fmac_f32 v52, 0x3e9e377a, v36
	s_delay_alu instid0(VALU_DEP_4) | instskip(SKIP_3) | instid1(VALU_DEP_4)
	v_add_f32_e32 v35, v25, v35
	v_fmamk_f32 v39, v42, 0x3f737871, v41
	v_fmac_f32_e32 v41, 0xbf737871, v42
	v_dual_fmac_f32 v10, 0x3e9e377a, v36 :: v_dual_add_f32 v43, v44, v43
	v_add_f32_e32 v36, v37, v35
	v_sub_f32_e32 v44, v23, v21
	v_sub_f32_e32 v23, v23, v25
	v_fmamk_f32 v35, v40, 0xbf737871, v11
	v_sub_f32_e32 v45, v25, v37
	v_fmac_f32_e32 v11, 0x3f737871, v40
	v_fmac_f32_e32 v39, 0x3f167918, v40
	v_sub_f32_e32 v21, v21, v37
	v_fmac_f32_e32 v35, 0x3f167918, v42
	v_add_f32_e32 v37, v45, v44
	v_fmac_f32_e32 v11, 0xbf167918, v42
	v_dual_add_f32 v42, v12, v22 :: v_dual_fmac_f32 v41, 0xbf167918, v40
	v_fmac_f32_e32 v39, 0x3e9e377a, v43
	s_delay_alu instid0(VALU_DEP_4) | instskip(NEXT) | instid1(VALU_DEP_4)
	v_fmac_f32_e32 v35, 0x3e9e377a, v37
	v_fmac_f32_e32 v11, 0x3e9e377a, v37
	s_delay_alu instid0(VALU_DEP_4) | instskip(SKIP_2) | instid1(VALU_DEP_1)
	v_add_f32_e32 v25, v24, v42
	v_sub_f32_e32 v37, v22, v24
	v_sub_f32_e32 v42, v38, v26
	v_add_f32_e32 v37, v42, v37
	v_fmac_f32_e32 v41, 0x3e9e377a, v43
	v_dual_add_f32 v43, v24, v26 :: v_dual_mul_f32 v42, 0x3e9e377a, v35
	s_delay_alu instid0(VALU_DEP_1) | instskip(SKIP_3) | instid1(VALU_DEP_3)
	v_fma_f32 v40, -0.5, v43, v12
	v_add_f32_e32 v43, v38, v22
	v_sub_f32_e32 v22, v24, v22
	v_sub_f32_e32 v24, v26, v38
	v_fmac_f32_e32 v12, -0.5, v43
	s_delay_alu instid0(VALU_DEP_2) | instskip(NEXT) | instid1(VALU_DEP_2)
	v_dual_add_f32 v22, v24, v22 :: v_dual_mul_f32 v59, 0xbf167918, v39
	v_fmamk_f32 v43, v23, 0x3f737871, v12
	v_fmac_f32_e32 v12, 0xbf737871, v23
	s_delay_alu instid0(VALU_DEP_1) | instskip(NEXT) | instid1(VALU_DEP_1)
	v_fmac_f32_e32 v12, 0x3f167918, v21
	v_fmac_f32_e32 v12, 0x3e9e377a, v22
	s_delay_alu instid0(VALU_DEP_4) | instskip(SKIP_2) | instid1(VALU_DEP_3)
	v_fmac_f32_e32 v43, 0xbf167918, v21
	v_fmamk_f32 v44, v21, 0xbf737871, v40
	v_fmac_f32_e32 v40, 0x3f737871, v21
	v_dual_fmac_f32 v43, 0x3e9e377a, v22 :: v_dual_mul_f32 v22, 0x3e9e377a, v11
	s_delay_alu instid0(VALU_DEP_3) | instskip(NEXT) | instid1(VALU_DEP_3)
	v_fmac_f32_e32 v44, 0xbf167918, v23
	v_fmac_f32_e32 v40, 0x3f167918, v23
	s_delay_alu instid0(VALU_DEP_3)
	v_fma_f32 v45, 0x3f737871, v12, -v22
	v_add_f32_e32 v22, v58, v36
	v_sub_f32_e32 v36, v58, v36
	v_fmac_f32_e32 v42, 0x3f737871, v43
	v_mul_f32_e32 v12, 0x3e9e377a, v12
	s_waitcnt vmcnt(7)
	v_add_f32_e32 v58, v6, v28
	s_delay_alu instid0(VALU_DEP_3)
	v_add_f32_e32 v24, v55, v42
	v_mul_f32_e32 v60, 0xbf737871, v35
	v_fmac_f32_e32 v44, 0x3e9e377a, v37
	v_fmac_f32_e32 v40, 0x3e9e377a, v37
	v_add_f32_e32 v21, v26, v25
	v_dual_mul_f32 v37, 0x3f4f1bbd, v41 :: v_dual_sub_f32 v42, v55, v42
	s_delay_alu instid0(VALU_DEP_4) | instskip(NEXT) | instid1(VALU_DEP_3)
	v_mul_f32_e32 v26, 0x3f167918, v44
	v_dual_fmac_f32 v60, 0x3e9e377a, v43 :: v_dual_add_f32 v21, v38, v21
	s_delay_alu instid0(VALU_DEP_3) | instskip(NEXT) | instid1(VALU_DEP_3)
	v_fma_f32 v54, 0x3f167918, v40, -v37
	v_dual_mul_f32 v37, 0x3f4f1bbd, v40 :: v_dual_fmac_f32 v26, 0x3f4f1bbd, v39
	s_waitcnt vmcnt(1)
	v_sub_f32_e32 v55, v33, v31
	v_add_f32_e32 v25, v9, v45
	v_add_f32_e32 v35, v0, v54
	v_fma_f32 v62, 0xbf167918, v41, -v37
	v_add_f32_e32 v23, v56, v26
	v_dual_sub_f32 v41, v56, v26 :: v_dual_add_f32 v26, v29, v31
	v_sub_f32_e32 v43, v9, v45
	v_fma_f32 v61, 0xbf737871, v11, -v12
	v_dual_add_f32 v37, v52, v60 :: v_dual_add_f32 v56, v27, v33
	s_delay_alu instid0(VALU_DEP_4)
	v_fma_f32 v45, -0.5, v26, v5
	v_dual_sub_f32 v26, v28, v34 :: v_dual_fmac_f32 v59, 0x3f4f1bbd, v44
	v_sub_f32_e32 v44, v0, v54
	v_add_f32_e32 v0, v5, v27
	v_dual_add_f32 v11, v53, v21 :: v_dual_sub_f32 v52, v52, v60
	v_add_f32_e32 v38, v10, v61
	v_sub_f32_e32 v40, v53, v21
	s_delay_alu instid0(VALU_DEP_4) | instskip(SKIP_3) | instid1(VALU_DEP_4)
	v_add_f32_e32 v0, v0, v29
	v_dual_add_f32 v12, v51, v59 :: v_dual_add_f32 v39, v57, v62
	v_sub_f32_e32 v51, v51, v59
	v_dual_sub_f32 v53, v30, v32 :: v_dual_sub_f32 v54, v27, v29
	v_dual_sub_f32 v9, v10, v61 :: v_dual_add_f32 v0, v0, v31
	v_fmamk_f32 v21, v26, 0x3f737871, v45
	v_dual_fmac_f32 v5, -0.5, v56 :: v_dual_sub_f32 v10, v57, v62
	v_dual_sub_f32 v56, v29, v27 :: v_dual_sub_f32 v27, v27, v33
	v_sub_f32_e32 v57, v31, v33
	v_add_f32_e32 v0, v0, v33
	v_fmac_f32_e32 v21, 0x3f167918, v53
	v_sub_f32_e32 v29, v29, v31
	v_sub_f32_e32 v31, v28, v30
	v_dual_fmac_f32 v45, 0xbf737871, v26 :: v_dual_add_f32 v56, v56, v57
	v_dual_add_f32 v54, v54, v55 :: v_dual_fmamk_f32 v55, v53, 0xbf737871, v5
	v_add_f32_e32 v59, v30, v32
	s_delay_alu instid0(VALU_DEP_3) | instskip(SKIP_1) | instid1(VALU_DEP_4)
	v_fmac_f32_e32 v45, 0xbf167918, v53
	v_add_f32_e32 v33, v28, v34
	v_dual_fmac_f32 v21, 0x3e9e377a, v54 :: v_dual_sub_f32 v28, v30, v28
	v_fmac_f32_e32 v5, 0x3f737871, v53
	v_add_f32_e32 v53, v58, v30
	v_sub_f32_e32 v30, v32, v34
	v_fmac_f32_e32 v55, 0x3f167918, v26
	v_fma_f32 v58, -0.5, v59, v6
	v_dual_fmac_f32 v6, -0.5, v33 :: v_dual_sub_f32 v33, v17, v19
	s_delay_alu instid0(VALU_DEP_4) | instskip(SKIP_3) | instid1(VALU_DEP_3)
	v_add_f32_e32 v28, v28, v30
	v_dual_fmac_f32 v5, 0xbf167918, v26 :: v_dual_add_f32 v26, v53, v32
	v_dual_sub_f32 v53, v34, v32 :: v_dual_add_f32 v32, v15, v19
	v_fmac_f32_e32 v45, 0x3e9e377a, v54
	v_add_f32_e32 v54, v26, v34
	s_delay_alu instid0(VALU_DEP_3) | instskip(NEXT) | instid1(VALU_DEP_4)
	v_add_f32_e32 v26, v31, v53
	v_fma_f32 v30, -0.5, v32, v7
	s_waitcnt vmcnt(0)
	v_dual_sub_f32 v32, v18, v14 :: v_dual_fmamk_f32 v57, v27, 0xbf737871, v58
	v_fmac_f32_e32 v58, 0x3f737871, v27
	v_fmamk_f32 v31, v29, 0x3f737871, v6
	v_fmac_f32_e32 v6, 0xbf737871, v29
	s_delay_alu instid0(VALU_DEP_4) | instskip(NEXT) | instid1(VALU_DEP_4)
	v_dual_sub_f32 v34, v13, v15 :: v_dual_fmac_f32 v57, 0xbf167918, v29
	v_dual_fmac_f32 v58, 0x3f167918, v29 :: v_dual_add_f32 v29, v17, v7
	s_delay_alu instid0(VALU_DEP_3) | instskip(SKIP_1) | instid1(VALU_DEP_4)
	v_fmac_f32_e32 v6, 0x3f167918, v27
	v_fmac_f32_e32 v55, 0x3e9e377a, v56
	;; [unrolled: 1-line block ×3, first 2 shown]
	s_delay_alu instid0(VALU_DEP_4) | instskip(SKIP_3) | instid1(VALU_DEP_3)
	v_fmac_f32_e32 v58, 0x3e9e377a, v26
	v_add_f32_e32 v26, v19, v29
	v_dual_fmac_f32 v6, 0x3e9e377a, v28 :: v_dual_add_f32 v53, v17, v13
	v_fmac_f32_e32 v5, 0x3e9e377a, v56
	v_dual_fmac_f32 v31, 0xbf167918, v27 :: v_dual_add_f32 v26, v15, v26
	v_fmamk_f32 v27, v32, 0x3f737871, v30
	s_delay_alu instid0(VALU_DEP_4)
	v_fmac_f32_e32 v7, -0.5, v53
	v_sub_f32_e32 v53, v15, v13
	v_sub_f32_e32 v15, v19, v15
	;; [unrolled: 1-line block ×3, first 2 shown]
	v_add_f32_e32 v33, v34, v33
	v_sub_f32_e32 v34, v19, v17
	v_add_f32_e32 v26, v13, v26
	v_dual_sub_f32 v13, v17, v13 :: v_dual_fmac_f32 v30, 0xbf737871, v32
	v_fmac_f32_e32 v27, 0x3f167918, v29
	s_delay_alu instid0(VALU_DEP_4) | instskip(SKIP_4) | instid1(VALU_DEP_3)
	v_add_f32_e32 v17, v53, v34
	v_fmac_f32_e32 v31, 0x3e9e377a, v28
	v_fmamk_f32 v28, v29, 0xbf737871, v7
	v_fmac_f32_e32 v7, 0x3f737871, v29
	v_dual_fmac_f32 v30, 0xbf167918, v29 :: v_dual_sub_f32 v19, v18, v20
	v_fmac_f32_e32 v28, 0x3f167918, v32
	s_delay_alu instid0(VALU_DEP_3) | instskip(SKIP_1) | instid1(VALU_DEP_4)
	v_fmac_f32_e32 v7, 0xbf167918, v32
	v_add_f32_e32 v32, v18, v8
	v_fmac_f32_e32 v30, 0x3e9e377a, v33
	s_delay_alu instid0(VALU_DEP_4) | instskip(NEXT) | instid1(VALU_DEP_4)
	v_fmac_f32_e32 v28, 0x3e9e377a, v17
	v_fmac_f32_e32 v7, 0x3e9e377a, v17
	s_delay_alu instid0(VALU_DEP_4) | instskip(SKIP_1) | instid1(VALU_DEP_4)
	v_add_f32_e32 v17, v20, v32
	v_sub_f32_e32 v32, v14, v16
	v_mul_f32_e32 v59, 0x3e9e377a, v28
	s_delay_alu instid0(VALU_DEP_2) | instskip(SKIP_2) | instid1(VALU_DEP_1)
	v_dual_mul_f32 v28, 0xbf737871, v28 :: v_dual_add_f32 v19, v32, v19
	v_fmac_f32_e32 v27, 0x3e9e377a, v33
	v_add_f32_e32 v33, v16, v20
	v_fma_f32 v29, -0.5, v33, v8
	v_add_f32_e32 v33, v18, v14
	v_sub_f32_e32 v18, v20, v18
	v_sub_f32_e32 v20, v16, v14
	s_delay_alu instid0(VALU_DEP_4) | instskip(NEXT) | instid1(VALU_DEP_4)
	v_fmamk_f32 v34, v13, 0xbf737871, v29
	v_fmac_f32_e32 v8, -0.5, v33
	s_delay_alu instid0(VALU_DEP_3) | instskip(NEXT) | instid1(VALU_DEP_3)
	v_add_f32_e32 v18, v20, v18
	v_fmac_f32_e32 v34, 0xbf167918, v15
	s_delay_alu instid0(VALU_DEP_1) | instskip(SKIP_3) | instid1(VALU_DEP_3)
	v_fmac_f32_e32 v34, 0x3e9e377a, v19
	v_mul_f32_e32 v56, 0x3f4f1bbd, v27
	v_mul_f32_e32 v63, 0xbf167918, v27
	v_fmac_f32_e32 v29, 0x3f737871, v13
	v_fmac_f32_e32 v56, 0x3f167918, v34
	s_delay_alu instid0(VALU_DEP_3) | instskip(SKIP_4) | instid1(VALU_DEP_4)
	v_fmac_f32_e32 v63, 0x3f4f1bbd, v34
	v_fmamk_f32 v33, v15, 0x3f737871, v8
	v_fmac_f32_e32 v8, 0xbf737871, v15
	v_fmac_f32_e32 v29, 0x3f167918, v15
	v_mul_f32_e32 v15, 0x3e9e377a, v7
	v_dual_add_f32 v20, v57, v63 :: v_dual_fmac_f32 v33, 0xbf167918, v13
	s_delay_alu instid0(VALU_DEP_4) | instskip(NEXT) | instid1(VALU_DEP_2)
	v_fmac_f32_e32 v8, 0x3f167918, v13
	v_fmac_f32_e32 v33, 0x3e9e377a, v18
	s_delay_alu instid0(VALU_DEP_2) | instskip(NEXT) | instid1(VALU_DEP_2)
	v_fmac_f32_e32 v8, 0x3e9e377a, v18
	v_fmac_f32_e32 v28, 0x3e9e377a, v33
	s_delay_alu instid0(VALU_DEP_2) | instskip(SKIP_1) | instid1(VALU_DEP_3)
	v_fma_f32 v61, 0x3f737871, v8, -v15
	v_mul_f32_e32 v8, 0x3e9e377a, v8
	v_dual_add_f32 v32, v31, v28 :: v_dual_fmac_f32 v29, 0x3e9e377a, v19
	s_delay_alu instid0(VALU_DEP_1) | instskip(SKIP_2) | instid1(VALU_DEP_3)
	v_mul_f32_e32 v18, 0x3f4f1bbd, v29
	v_add_f32_e32 v13, v16, v17
	v_dual_mul_f32 v17, 0x3f4f1bbd, v30 :: v_dual_add_f32 v16, v5, v61
	v_fma_f32 v30, 0xbf167918, v30, -v18
	s_delay_alu instid0(VALU_DEP_3)
	v_dual_add_f32 v60, v14, v13 :: v_dual_add_f32 v13, v0, v26
	v_sub_f32_e32 v18, v0, v26
	v_sub_f32_e32 v26, v5, v61
	v_mul_i32_i24_e32 v5, 10, v48
	v_add_f32_e32 v14, v21, v56
	v_fma_f32 v62, 0x3f167918, v29, -v17
	v_fma_f32 v29, 0xbf737871, v7, -v8
	v_sub_f32_e32 v7, v21, v56
	v_lshl_add_u32 v21, v5, 2, 0
	v_and_b32_e32 v5, 0xff, v46
	v_mul_u32_u24_e32 v0, 10, v46
	v_dual_add_f32 v53, v58, v30 :: v_dual_sub_f32 v56, v31, v28
	v_sub_f32_e32 v58, v58, v30
	s_delay_alu instid0(VALU_DEP_4)
	v_mul_lo_u16 v5, 0xcd, v5
	v_fmac_f32_e32 v59, 0x3f737871, v33
	v_lshl_add_u32 v34, v0, 2, 0
	v_add_f32_e32 v33, v6, v29
	v_sub_f32_e32 v27, v45, v62
	v_lshrrev_b16 v5, 11, v5
	v_sub_f32_e32 v8, v55, v59
	v_mad_i32_i24 v0, 0xffffffdc, v46, v34
	v_add_f32_e32 v15, v55, v59
	v_sub_f32_e32 v55, v57, v63
	v_sub_f32_e32 v57, v6, v29
	v_mul_lo_u16 v6, v5, 10
	v_dual_add_f32 v17, v45, v62 :: v_dual_add_nc_u32 v30, 0x2800, v0
	v_add_nc_u32_e32 v28, 0xf00, v0
	ds_store_2addr_b64 v34, v[22:23], v[24:25] offset1:1
	ds_store_2addr_b64 v34, v[35:36], v[41:42] offset0:2 offset1:3
	ds_store_b64 v34, v[43:44] offset:32
	ds_store_2addr_b64 v21, v[13:14], v[15:16] offset1:1
	ds_store_2addr_b64 v21, v[17:18], v[7:8] offset0:2 offset1:3
	ds_store_b64 v21, v[26:27] offset:32
	v_sub_nc_u16 v6, v46, v6
	v_add_f32_e32 v19, v54, v60
	v_add_nc_u32_e32 v26, 0x1580, v0
	v_add_nc_u32_e32 v29, 0x1c00, v0
	v_sub_f32_e32 v54, v54, v60
	v_and_b32_e32 v6, 0xff, v6
	s_waitcnt lgkmcnt(0)
	s_barrier
	buffer_gl0_inv
	v_lshl_add_u32 v22, v47, 2, 0
	v_mul_u32_u24_e32 v8, 9, v6
	v_lshl_add_u32 v24, v49, 2, 0
	ds_load_2addr_b32 v[44:45], v28 offset0:40 offset1:240
	ds_load_2addr_b32 v[59:60], v26 offset0:24 offset1:224
	;; [unrolled: 1-line block ×3, first 2 shown]
	v_add_nc_u32_e32 v23, 0x2e80, v0
	ds_load_2addr_b32 v[65:66], v30 offset0:40 offset1:240
	v_add_nc_u32_e32 v25, 0x2200, v0
	v_lshlrev_b32_e32 v8, 3, v8
	v_add_nc_u32_e32 v27, 0x3500, v0
	v_mad_i32_i24 v31, 0xffffffdc, v48, v21
	v_and_b32_e32 v5, 0xffff, v5
	ds_load_2addr_b32 v[63:64], v25 offset0:24 offset1:224
	ds_load_2addr_b32 v[67:68], v23 offset0:24 offset1:224
	;; [unrolled: 1-line block ×3, first 2 shown]
	ds_load_b32 v83, v24
	ds_load_b32 v7, v31
	;; [unrolled: 1-line block ×3, first 2 shown]
	ds_load_b32 v85, v0 offset:2400
	ds_load_b32 v86, v22
	ds_load_b32 v87, v0 offset:15200
	s_waitcnt lgkmcnt(0)
	s_barrier
	buffer_gl0_inv
	ds_store_2addr_b64 v34, v[11:12], v[37:38] offset1:1
	ds_store_2addr_b64 v34, v[39:40], v[51:52] offset0:2 offset1:3
	ds_store_b64 v34, v[9:10] offset:32
	ds_store_2addr_b64 v21, v[19:20], v[32:33] offset1:1
	ds_store_2addr_b64 v21, v[53:54], v[55:56] offset0:2 offset1:3
	ds_store_b64 v21, v[57:58] offset:32
	s_waitcnt lgkmcnt(0)
	s_barrier
	buffer_gl0_inv
	s_clause 0x4
	global_load_b128 v[11:14], v8, s[8:9]
	global_load_b128 v[15:18], v8, s[8:9] offset:16
	global_load_b128 v[32:35], v8, s[8:9] offset:32
	;; [unrolled: 1-line block ×3, first 2 shown]
	global_load_b64 v[55:56], v8, s[8:9] offset:64
	v_and_b32_e32 v8, 0xffff, v48
	ds_load_b32 v19, v22
	ds_load_b32 v20, v24
	v_mul_u32_u24_e32 v5, 0x190, v5
	v_lshlrev_b32_e32 v6, 2, v6
	v_mul_u32_u24_e32 v8, 0xcccd, v8
	s_delay_alu instid0(VALU_DEP_1) | instskip(NEXT) | instid1(VALU_DEP_1)
	v_lshrrev_b32_e32 v8, 19, v8
	v_mul_lo_u16 v9, v8, 10
	s_delay_alu instid0(VALU_DEP_1) | instskip(NEXT) | instid1(VALU_DEP_1)
	v_sub_nc_u16 v9, v48, v9
	v_and_b32_e32 v9, 0xffff, v9
	s_delay_alu instid0(VALU_DEP_1) | instskip(NEXT) | instid1(VALU_DEP_1)
	v_mul_u32_u24_e32 v10, 9, v9
	v_lshlrev_b32_e32 v88, 3, v10
	global_load_b128 v[40:43], v88, s[8:9]
	ds_load_2addr_b32 v[57:58], v28 offset0:40 offset1:240
	ds_load_2addr_b32 v[71:72], v26 offset0:24 offset1:224
	;; [unrolled: 1-line block ×6, first 2 shown]
	ds_load_b32 v10, v31
	ds_load_b32 v89, v0 offset:15200
	ds_load_2addr_b32 v[81:82], v27 offset0:8 offset1:208
	s_waitcnt vmcnt(5) lgkmcnt(10)
	v_mul_f32_e32 v51, v19, v12
	v_mul_f32_e32 v90, v86, v12
	s_waitcnt lgkmcnt(9)
	v_mul_f32_e32 v12, v20, v14
	v_mul_f32_e32 v91, v83, v14
	s_waitcnt vmcnt(4)
	v_mul_f32_e32 v92, v60, v18
	v_fma_f32 v86, v86, v11, -v51
	v_fmac_f32_e32 v90, v19, v11
	v_fma_f32 v83, v83, v13, -v12
	v_dual_fmac_f32 v91, v20, v13 :: v_dual_mul_f32 v20, v45, v16
	s_waitcnt lgkmcnt(7)
	v_dual_mul_f32 v12, v72, v18 :: v_dual_mul_f32 v11, v58, v16
	v_fmac_f32_e32 v92, v72, v17
	s_waitcnt vmcnt(3)
	v_mul_f32_e32 v72, v64, v35
	v_fmac_f32_e32 v20, v58, v15
	v_fma_f32 v58, v60, v17, -v12
	s_clause 0x1
	global_load_b128 v[16:19], v88, s[8:9] offset:32
	global_load_b128 v[51:54], v88, s[8:9] offset:16
	s_waitcnt vmcnt(4) lgkmcnt(3)
	v_dual_mul_f32 v13, v74, v33 :: v_dual_mul_f32 v12, v80, v39
	v_mul_f32_e32 v39, v68, v39
	v_fmac_f32_e32 v72, v76, v34
	s_delay_alu instid0(VALU_DEP_3)
	v_fma_f32 v60, v62, v32, -v13
	ds_load_b32 v13, v0 offset:2400
	v_mul_f32_e32 v62, v62, v33
	v_fma_f32 v68, v68, v38, -v12
	s_waitcnt vmcnt(3)
	v_dual_fmac_f32 v39, v80, v38 :: v_dual_mul_f32 v38, v70, v56
	s_delay_alu instid0(VALU_DEP_3) | instskip(SKIP_2) | instid1(VALU_DEP_3)
	v_fmac_f32_e32 v62, v74, v32
	v_mul_f32_e32 v74, v66, v37
	s_waitcnt lgkmcnt(1)
	v_fmac_f32_e32 v38, v82, v55
	s_delay_alu instid0(VALU_DEP_2) | instskip(SKIP_3) | instid1(VALU_DEP_1)
	v_fmac_f32_e32 v74, v78, v36
	s_waitcnt vmcnt(2)
	v_mul_f32_e32 v12, v85, v41
	s_waitcnt lgkmcnt(0)
	v_fmac_f32_e32 v12, v13, v40
	s_waitcnt vmcnt(0)
	v_mul_f32_e32 v14, v73, v54
	v_fma_f32 v45, v45, v15, -v11
	v_mul_f32_e32 v11, v76, v35
	v_mul_f32_e32 v15, v59, v52
	s_delay_alu instid0(VALU_DEP_2) | instskip(SKIP_2) | instid1(VALU_DEP_1)
	v_fma_f32 v64, v64, v34, -v11
	global_load_b128 v[32:35], v88, s[8:9] offset:48
	v_mul_f32_e32 v11, v78, v37
	v_fma_f32 v66, v66, v36, -v11
	global_load_b64 v[36:37], v88, s[8:9] offset:64
	v_mul_f32_e32 v11, v82, v56
	s_delay_alu instid0(VALU_DEP_1) | instskip(SKIP_1) | instid1(VALU_DEP_2)
	v_fma_f32 v56, v70, v55, -v11
	v_mul_f32_e32 v11, v57, v43
	v_dual_mul_f32 v43, v44, v43 :: v_dual_sub_f32 v70, v66, v56
	s_delay_alu instid0(VALU_DEP_2) | instskip(SKIP_2) | instid1(VALU_DEP_4)
	v_fma_f32 v55, v44, v42, -v11
	v_mul_f32_e32 v11, v13, v41
	v_mul_f32_e32 v13, v71, v52
	v_fmac_f32_e32 v43, v57, v42
	v_sub_f32_e32 v57, v83, v58
	ds_load_b32 v41, v0
	v_fma_f32 v11, v85, v40, -v11
	v_mul_f32_e32 v40, v61, v54
	v_fma_f32 v44, v59, v51, -v13
	v_dual_sub_f32 v59, v68, v64 :: v_dual_mul_f32 v42, v75, v17
	v_dual_sub_f32 v54, v92, v72 :: v_dual_fmac_f32 v15, v71, v51
	v_fma_f32 v51, v61, v53, -v14
	v_fmac_f32_e32 v40, v73, v53
	v_mul_f32_e32 v14, v63, v17
	v_add_f32_e32 v61, v83, v68
	v_mul_f32_e32 v17, v77, v19
	v_add_f32_e32 v57, v57, v59
	v_sub_f32_e32 v53, v91, v39
	v_mul_f32_e32 v19, v65, v19
	v_fma_f32 v42, v63, v16, -v42
	v_fmac_f32_e32 v14, v75, v16
	v_fma_f32 v16, v65, v18, -v17
	v_sub_f32_e32 v59, v58, v83
	v_dual_fmac_f32 v19, v77, v18 :: v_dual_add_f32 v18, v58, v64
	s_waitcnt lgkmcnt(0)
	v_add_f32_e32 v63, v41, v91
	v_add_f32_e32 v65, v92, v72
	s_waitcnt vmcnt(0)
	s_barrier
	v_fma_f32 v18, -0.5, v18, v84
	buffer_gl0_inv
	v_mul_f32_e32 v52, v79, v33
	s_delay_alu instid0(VALU_DEP_1)
	v_fma_f32 v17, v67, v32, -v52
	v_add_f32_e32 v52, v84, v83
	v_fmac_f32_e32 v84, -0.5, v61
	v_mul_f32_e32 v13, v67, v33
	v_mul_f32_e32 v33, v69, v35
	v_sub_f32_e32 v61, v64, v68
	v_sub_f32_e32 v67, v56, v66
	s_delay_alu instid0(VALU_DEP_4)
	v_dual_fmac_f32 v13, v79, v32 :: v_dual_mul_f32 v32, v81, v35
	v_mul_f32_e32 v35, v89, v37
	v_fmac_f32_e32 v33, v81, v34
	v_mul_f32_e32 v37, v87, v37
	v_add_f32_e32 v59, v59, v61
	v_fma_f32 v32, v69, v34, -v32
	v_fma_f32 v34, v87, v36, -v35
	v_dual_add_f32 v35, v52, v58 :: v_dual_fmamk_f32 v52, v53, 0x3f737871, v18
	v_fmac_f32_e32 v18, 0xbf737871, v53
	v_sub_f32_e32 v58, v58, v64
	v_dual_fmac_f32 v37, v89, v36 :: v_dual_fmamk_f32 v36, v54, 0xbf737871, v84
	s_delay_alu instid0(VALU_DEP_4) | instskip(NEXT) | instid1(VALU_DEP_4)
	v_fmac_f32_e32 v52, 0x3f167918, v54
	v_fmac_f32_e32 v18, 0xbf167918, v54
	;; [unrolled: 1-line block ×3, first 2 shown]
	v_add_f32_e32 v54, v63, v92
	v_fma_f32 v61, -0.5, v65, v41
	s_delay_alu instid0(VALU_DEP_4) | instskip(SKIP_1) | instid1(VALU_DEP_4)
	v_dual_sub_f32 v63, v83, v68 :: v_dual_fmac_f32 v18, 0x3e9e377a, v57
	v_fmac_f32_e32 v36, 0x3f167918, v53
	v_dual_fmac_f32 v84, 0xbf167918, v53 :: v_dual_add_f32 v53, v54, v72
	s_delay_alu instid0(VALU_DEP_3) | instskip(NEXT) | instid1(VALU_DEP_3)
	v_fmamk_f32 v54, v63, 0xbf737871, v61
	v_dual_sub_f32 v65, v39, v72 :: v_dual_fmac_f32 v36, 0x3e9e377a, v59
	v_add_f32_e32 v35, v35, v64
	v_sub_f32_e32 v64, v91, v92
	s_delay_alu instid0(VALU_DEP_4)
	v_fmac_f32_e32 v54, 0xbf167918, v58
	v_dual_fmac_f32 v52, 0x3e9e377a, v57 :: v_dual_add_f32 v57, v91, v39
	v_fmac_f32_e32 v61, 0x3f737871, v63
	v_fmac_f32_e32 v84, 0x3e9e377a, v59
	v_add_f32_e32 v53, v53, v39
	v_sub_f32_e32 v69, v60, v45
	v_fmac_f32_e32 v41, -0.5, v57
	v_add_f32_e32 v57, v64, v65
	v_add_f32_e32 v65, v86, v45
	v_dual_fmac_f32 v61, 0x3f167918, v58 :: v_dual_sub_f32 v64, v92, v91
	s_delay_alu instid0(VALU_DEP_4) | instskip(NEXT) | instid1(VALU_DEP_3)
	v_fmamk_f32 v59, v58, 0x3f737871, v41
	v_dual_fmac_f32 v41, 0xbf737871, v58 :: v_dual_add_f32 v58, v65, v60
	v_sub_f32_e32 v65, v45, v60
	v_dual_add_f32 v35, v35, v68 :: v_dual_fmac_f32 v54, 0x3e9e377a, v57
	s_delay_alu instid0(VALU_DEP_3) | instskip(NEXT) | instid1(VALU_DEP_3)
	v_fmac_f32_e32 v41, 0x3f167918, v63
	v_add_f32_e32 v65, v65, v67
	v_sub_f32_e32 v39, v72, v39
	v_add_f32_e32 v67, v69, v70
	v_fmac_f32_e32 v61, 0x3e9e377a, v57
	v_sub_f32_e32 v69, v74, v38
	s_delay_alu instid0(VALU_DEP_4) | instskip(SKIP_4) | instid1(VALU_DEP_4)
	v_add_f32_e32 v39, v64, v39
	v_add_f32_e32 v64, v60, v66
	v_dual_sub_f32 v60, v60, v66 :: v_dual_fmac_f32 v59, 0xbf167918, v63
	v_add_f32_e32 v57, v58, v66
	v_add_f32_e32 v63, v45, v56
	v_fma_f32 v58, -0.5, v64, v86
	v_dual_fmac_f32 v41, 0x3e9e377a, v39 :: v_dual_sub_f32 v66, v38, v74
	v_fmac_f32_e32 v59, 0x3e9e377a, v39
	v_add_f32_e32 v39, v57, v56
	v_dual_sub_f32 v57, v62, v74 :: v_dual_fmac_f32 v86, -0.5, v63
	v_sub_f32_e32 v64, v20, v38
	s_delay_alu instid0(VALU_DEP_2) | instskip(NEXT) | instid1(VALU_DEP_2)
	v_fmamk_f32 v68, v57, 0xbf737871, v86
	v_fmamk_f32 v63, v64, 0x3f737871, v58
	v_fmac_f32_e32 v58, 0xbf737871, v64
	v_fmac_f32_e32 v86, 0x3f737871, v57
	s_delay_alu instid0(VALU_DEP_3) | instskip(NEXT) | instid1(VALU_DEP_3)
	v_dual_fmac_f32 v68, 0x3f167918, v64 :: v_dual_fmac_f32 v63, 0x3f167918, v57
	v_fmac_f32_e32 v58, 0xbf167918, v57
	s_delay_alu instid0(VALU_DEP_3) | instskip(SKIP_1) | instid1(VALU_DEP_4)
	v_fmac_f32_e32 v86, 0xbf167918, v64
	v_add_f32_e32 v64, v20, v38
	v_dual_fmac_f32 v68, 0x3e9e377a, v67 :: v_dual_add_f32 v57, v62, v74
	s_delay_alu instid0(VALU_DEP_4) | instskip(SKIP_1) | instid1(VALU_DEP_3)
	v_dual_fmac_f32 v58, 0x3e9e377a, v65 :: v_dual_sub_f32 v45, v45, v56
	v_dual_add_f32 v56, v90, v20 :: v_dual_fmac_f32 v63, 0x3e9e377a, v65
	v_fma_f32 v57, -0.5, v57, v90
	v_fmac_f32_e32 v90, -0.5, v64
	v_dual_fmac_f32 v86, 0x3e9e377a, v67 :: v_dual_sub_f32 v65, v20, v62
	v_sub_f32_e32 v20, v62, v20
	v_add_f32_e32 v56, v56, v62
	s_delay_alu instid0(VALU_DEP_4)
	v_fmamk_f32 v67, v60, 0x3f737871, v90
	v_fmac_f32_e32 v90, 0xbf737871, v60
	v_fmamk_f32 v64, v45, 0xbf737871, v57
	v_add_f32_e32 v20, v20, v69
	v_fmac_f32_e32 v57, 0x3f737871, v45
	v_fmac_f32_e32 v67, 0xbf167918, v45
	v_dual_fmac_f32 v90, 0x3f167918, v45 :: v_dual_add_f32 v45, v56, v74
	v_fmac_f32_e32 v64, 0xbf167918, v60
	s_delay_alu instid0(VALU_DEP_4) | instskip(SKIP_1) | instid1(VALU_DEP_4)
	v_fmac_f32_e32 v57, 0x3f167918, v60
	v_mul_f32_e32 v60, 0x3e9e377a, v86
	v_fmac_f32_e32 v90, 0x3e9e377a, v20
	v_dual_fmac_f32 v67, 0x3e9e377a, v20 :: v_dual_add_f32 v38, v45, v38
	s_delay_alu instid0(VALU_DEP_2) | instskip(NEXT) | instid1(VALU_DEP_2)
	v_mul_f32_e32 v70, 0x3e9e377a, v90
	v_mul_f32_e32 v56, 0x3f737871, v67
	v_fma_f32 v45, 0x3f737871, v90, -v60
	v_mul_f32_e32 v60, 0x3f4f1bbd, v58
	v_add_f32_e32 v62, v35, v39
	s_delay_alu instid0(VALU_DEP_4) | instskip(SKIP_1) | instid1(VALU_DEP_1)
	v_fmac_f32_e32 v56, 0x3e9e377a, v68
	v_mul_f32_e32 v68, 0xbf737871, v68
	v_dual_fmac_f32 v68, 0x3e9e377a, v67 :: v_dual_add_f32 v65, v65, v66
	s_delay_alu instid0(VALU_DEP_3) | instskip(SKIP_2) | instid1(VALU_DEP_4)
	v_dual_add_f32 v66, v36, v56 :: v_dual_add_f32 v67, v53, v38
	v_sub_f32_e32 v38, v53, v38
	v_sub_f32_e32 v36, v36, v56
	v_fmac_f32_e32 v64, 0x3e9e377a, v65
	v_fmac_f32_e32 v57, 0x3e9e377a, v65
	v_sub_f32_e32 v56, v43, v33
	v_dual_add_f32 v69, v84, v45 :: v_dual_add_f32 v72, v59, v68
	s_delay_alu instid0(VALU_DEP_4) | instskip(NEXT) | instid1(VALU_DEP_4)
	v_mul_f32_e32 v20, 0x3f167918, v64
	v_fma_f32 v60, 0x3f167918, v57, -v60
	s_delay_alu instid0(VALU_DEP_2) | instskip(SKIP_1) | instid1(VALU_DEP_2)
	v_fmac_f32_e32 v20, 0x3f4f1bbd, v63
	v_mul_f32_e32 v63, 0xbf167918, v63
	v_add_f32_e32 v65, v52, v20
	v_sub_f32_e32 v20, v52, v20
	v_dual_add_f32 v52, v7, v55 :: v_dual_mul_f32 v57, 0x3f4f1bbd, v57
	s_delay_alu instid0(VALU_DEP_4) | instskip(SKIP_1) | instid1(VALU_DEP_3)
	v_fmac_f32_e32 v63, 0x3f4f1bbd, v64
	v_fma_f32 v64, 0xbf737871, v86, -v70
	v_add_f32_e32 v52, v52, v51
	s_delay_alu instid0(VALU_DEP_4) | instskip(SKIP_2) | instid1(VALU_DEP_4)
	v_fma_f32 v57, 0xbf167918, v58, -v57
	v_sub_f32_e32 v35, v35, v39
	v_add_f32_e32 v39, v51, v16
	v_add_f32_e32 v52, v52, v16
	s_delay_alu instid0(VALU_DEP_4) | instskip(NEXT) | instid1(VALU_DEP_3)
	v_add_f32_e32 v74, v61, v57
	v_fma_f32 v39, -0.5, v39, v7
	v_add_f32_e32 v71, v18, v60
	v_sub_f32_e32 v18, v18, v60
	v_sub_f32_e32 v60, v55, v51
	v_add_f32_e32 v70, v54, v63
	v_dual_fmamk_f32 v58, v56, 0x3f737871, v39 :: v_dual_sub_f32 v53, v54, v63
	v_add_f32_e32 v52, v52, v32
	v_dual_sub_f32 v54, v59, v68 :: v_dual_sub_f32 v59, v40, v19
	v_sub_f32_e32 v63, v32, v16
	v_add_f32_e32 v68, v55, v32
	s_delay_alu instid0(VALU_DEP_2) | instskip(NEXT) | instid1(VALU_DEP_2)
	v_dual_fmac_f32 v39, 0xbf737871, v56 :: v_dual_add_f32 v60, v60, v63
	v_dual_fmac_f32 v7, -0.5, v68 :: v_dual_sub_f32 v68, v61, v57
	v_sub_f32_e32 v63, v16, v32
	s_delay_alu instid0(VALU_DEP_3)
	v_dual_sub_f32 v32, v55, v32 :: v_dual_fmac_f32 v39, 0xbf167918, v59
	v_sub_f32_e32 v16, v51, v16
	v_sub_f32_e32 v61, v51, v55
	v_add_f32_e32 v75, v40, v19
	v_dual_add_f32 v73, v41, v64 :: v_dual_fmac_f32 v58, 0x3f167918, v59
	v_sub_f32_e32 v45, v84, v45
	s_delay_alu instid0(VALU_DEP_4) | instskip(NEXT) | instid1(VALU_DEP_4)
	v_add_f32_e32 v61, v61, v63
	v_fma_f32 v63, -0.5, v75, v10
	v_dual_sub_f32 v41, v41, v64 :: v_dual_add_f32 v64, v10, v43
	v_fmac_f32_e32 v58, 0x3e9e377a, v60
	v_dual_fmac_f32 v39, 0x3e9e377a, v60 :: v_dual_sub_f32 v60, v33, v19
	v_fmamk_f32 v57, v59, 0xbf737871, v7
	v_fmac_f32_e32 v7, 0x3f737871, v59
	v_add_f32_e32 v59, v64, v40
	v_dual_sub_f32 v51, v43, v40 :: v_dual_sub_f32 v40, v40, v43
	s_delay_alu instid0(VALU_DEP_3) | instskip(NEXT) | instid1(VALU_DEP_3)
	v_dual_sub_f32 v64, v17, v34 :: v_dual_fmac_f32 v7, 0xbf167918, v56
	v_add_f32_e32 v55, v59, v19
	v_add_f32_e32 v59, v43, v33
	v_sub_f32_e32 v19, v19, v33
	v_add_f32_e32 v51, v51, v60
	s_delay_alu instid0(VALU_DEP_3) | instskip(NEXT) | instid1(VALU_DEP_3)
	v_dual_sub_f32 v43, v44, v42 :: v_dual_fmac_f32 v10, -0.5, v59
	v_dual_add_f32 v19, v40, v19 :: v_dual_sub_f32 v40, v15, v37
	v_add_f32_e32 v55, v55, v33
	v_add_f32_e32 v33, v11, v44
	v_fmac_f32_e32 v57, 0x3f167918, v56
	v_fmamk_f32 v56, v32, 0xbf737871, v63
	v_fmac_f32_e32 v63, 0x3f737871, v32
	v_fmamk_f32 v59, v16, 0x3f737871, v10
	v_fmac_f32_e32 v10, 0xbf737871, v16
	s_delay_alu instid0(VALU_DEP_4) | instskip(NEXT) | instid1(VALU_DEP_4)
	v_fmac_f32_e32 v56, 0xbf167918, v16
	v_dual_fmac_f32 v63, 0x3f167918, v16 :: v_dual_add_f32 v16, v33, v42
	s_delay_alu instid0(VALU_DEP_3) | instskip(NEXT) | instid1(VALU_DEP_3)
	v_dual_add_f32 v33, v42, v17 :: v_dual_fmac_f32 v10, 0x3f167918, v32
	v_fmac_f32_e32 v56, 0x3e9e377a, v51
	s_delay_alu instid0(VALU_DEP_3) | instskip(SKIP_1) | instid1(VALU_DEP_4)
	v_dual_fmac_f32 v63, 0x3e9e377a, v51 :: v_dual_add_f32 v16, v16, v17
	v_fmac_f32_e32 v57, 0x3e9e377a, v61
	v_dual_sub_f32 v51, v34, v17 :: v_dual_fmac_f32 v10, 0x3e9e377a, v19
	s_delay_alu instid0(VALU_DEP_3) | instskip(SKIP_4) | instid1(VALU_DEP_4)
	v_dual_add_f32 v16, v16, v34 :: v_dual_sub_f32 v17, v42, v17
	v_fmac_f32_e32 v59, 0xbf167918, v32
	v_fma_f32 v32, -0.5, v33, v11
	v_add_f32_e32 v33, v44, v34
	v_dual_sub_f32 v34, v44, v34 :: v_dual_add_f32 v43, v43, v51
	v_fmac_f32_e32 v59, 0x3e9e377a, v19
	v_sub_f32_e32 v19, v14, v13
	s_delay_alu instid0(VALU_DEP_4) | instskip(SKIP_2) | instid1(VALU_DEP_3)
	v_fmac_f32_e32 v11, -0.5, v33
	v_fmamk_f32 v33, v40, 0x3f737871, v32
	v_fmac_f32_e32 v32, 0xbf737871, v40
	v_fmamk_f32 v60, v19, 0xbf737871, v11
	v_fmac_f32_e32 v11, 0x3f737871, v19
	s_delay_alu instid0(VALU_DEP_3) | instskip(NEXT) | instid1(VALU_DEP_3)
	v_fmac_f32_e32 v32, 0xbf167918, v19
	v_fmac_f32_e32 v60, 0x3f167918, v40
	;; [unrolled: 1-line block ×4, first 2 shown]
	s_delay_alu instid0(VALU_DEP_4) | instskip(SKIP_1) | instid1(VALU_DEP_3)
	v_dual_add_f32 v19, v14, v13 :: v_dual_fmac_f32 v32, 0x3e9e377a, v43
	v_dual_fmac_f32 v11, 0xbf167918, v40 :: v_dual_add_f32 v40, v15, v37
	v_fmac_f32_e32 v33, 0x3e9e377a, v43
	v_add_f32_e32 v43, v12, v15
	v_sub_f32_e32 v61, v42, v44
	v_fma_f32 v19, -0.5, v19, v12
	v_dual_sub_f32 v42, v15, v14 :: v_dual_sub_f32 v15, v14, v15
	s_delay_alu instid0(VALU_DEP_3) | instskip(SKIP_1) | instid1(VALU_DEP_4)
	v_dual_add_f32 v14, v43, v14 :: v_dual_add_f32 v51, v61, v64
	v_fmac_f32_e32 v12, -0.5, v40
	v_fmamk_f32 v40, v34, 0xbf737871, v19
	v_sub_f32_e32 v44, v37, v13
	v_sub_f32_e32 v61, v13, v37
	v_dual_add_f32 v13, v14, v13 :: v_dual_fmac_f32 v60, 0x3e9e377a, v51
	s_delay_alu instid0(VALU_DEP_3) | instskip(NEXT) | instid1(VALU_DEP_3)
	v_dual_fmac_f32 v19, 0x3f737871, v34 :: v_dual_add_f32 v42, v42, v44
	v_add_f32_e32 v15, v15, v61
	s_delay_alu instid0(VALU_DEP_3) | instskip(SKIP_4) | instid1(VALU_DEP_2)
	v_add_f32_e32 v13, v13, v37
	v_add_f32_e32 v37, v52, v16
	v_sub_f32_e32 v16, v52, v16
	v_fmac_f32_e32 v40, 0xbf167918, v17
	v_fmac_f32_e32 v19, 0x3f167918, v17
	v_dual_fmac_f32 v40, 0x3e9e377a, v42 :: v_dual_fmac_f32 v11, 0x3e9e377a, v51
	v_fmamk_f32 v51, v17, 0x3f737871, v12
	v_fmac_f32_e32 v12, 0xbf737871, v17
	s_delay_alu instid0(VALU_DEP_4) | instskip(NEXT) | instid1(VALU_DEP_4)
	v_fmac_f32_e32 v19, 0x3e9e377a, v42
	v_mul_f32_e32 v14, 0x3f167918, v40
	v_mul_f32_e32 v17, 0x3e9e377a, v11
	v_fmac_f32_e32 v51, 0xbf167918, v34
	v_fmac_f32_e32 v12, 0x3f167918, v34
	v_mul_f32_e32 v34, 0x3f4f1bbd, v32
	s_delay_alu instid0(VALU_DEP_3) | instskip(NEXT) | instid1(VALU_DEP_3)
	v_fmac_f32_e32 v51, 0x3e9e377a, v15
	v_fmac_f32_e32 v12, 0x3e9e377a, v15
	s_delay_alu instid0(VALU_DEP_3) | instskip(SKIP_1) | instid1(VALU_DEP_4)
	v_fma_f32 v34, 0x3f167918, v19, -v34
	v_mul_f32_e32 v19, 0x3f4f1bbd, v19
	v_mul_f32_e32 v15, 0x3f737871, v51
	s_delay_alu instid0(VALU_DEP_4) | instskip(NEXT) | instid1(VALU_DEP_4)
	v_fma_f32 v17, 0x3f737871, v12, -v17
	v_dual_mul_f32 v12, 0x3e9e377a, v12 :: v_dual_add_f32 v61, v39, v34
	v_fmac_f32_e32 v14, 0x3f4f1bbd, v33
	s_delay_alu instid0(VALU_DEP_4)
	v_fmac_f32_e32 v15, 0x3e9e377a, v60
	v_mul_f32_e32 v60, 0xbf737871, v60
	v_add_f32_e32 v44, v7, v17
	v_sub_f32_e32 v7, v7, v17
	v_sub_f32_e32 v17, v39, v34
	v_mul_f32_e32 v33, 0xbf167918, v33
	v_fmac_f32_e32 v60, 0x3e9e377a, v51
	v_dual_add_f32 v42, v58, v14 :: v_dual_add_f32 v43, v57, v15
	v_sub_f32_e32 v15, v57, v15
	s_delay_alu instid0(VALU_DEP_4) | instskip(NEXT) | instid1(VALU_DEP_4)
	v_fmac_f32_e32 v33, 0x3f4f1bbd, v40
	v_sub_f32_e32 v34, v59, v60
	v_fma_f32 v11, 0xbf737871, v11, -v12
	v_fma_f32 v12, 0xbf167918, v32, -v19
	v_add_f32_e32 v19, v55, v13
	v_add_f32_e32 v32, v56, v33
	s_delay_alu instid0(VALU_DEP_4)
	v_dual_add_f32 v40, v59, v60 :: v_dual_add_f32 v51, v10, v11
	v_sub_f32_e32 v11, v10, v11
	v_add3_u32 v10, 0, v5, v6
	v_mul_u32_u24_e32 v5, 0x190, v8
	v_dual_add_f32 v75, v63, v12 :: v_dual_lshlrev_b32 v6, 2, v9
	v_dual_sub_f32 v14, v58, v14 :: v_dual_sub_f32 v13, v55, v13
	v_sub_f32_e32 v33, v56, v33
	s_delay_alu instid0(VALU_DEP_3)
	v_add3_u32 v39, 0, v5, v6
	v_dual_mov_b32 v6, 0 :: v_dual_add_nc_u32 v5, 0xffffff9c, v46
	v_sub_f32_e32 v12, v63, v12
	ds_store_2addr_b32 v10, v62, v65 offset1:10
	ds_store_2addr_b32 v10, v66, v69 offset0:20 offset1:30
	ds_store_2addr_b32 v10, v71, v35 offset0:40 offset1:50
	;; [unrolled: 1-line block ×4, first 2 shown]
	ds_store_2addr_b32 v39, v37, v42 offset1:10
	ds_store_2addr_b32 v39, v43, v44 offset0:20 offset1:30
	ds_store_2addr_b32 v39, v61, v16 offset0:40 offset1:50
	;; [unrolled: 1-line block ×4, first 2 shown]
	v_cndmask_b32_e64 v8, v5, v46, s0
	s_waitcnt lgkmcnt(0)
	s_barrier
	buffer_gl0_inv
	ds_load_2addr_b32 v[44:45], v28 offset0:40 offset1:240
	ds_load_2addr_b32 v[55:56], v26 offset0:24 offset1:224
	;; [unrolled: 1-line block ×7, first 2 shown]
	ds_load_b32 v15, v24
	ds_load_b32 v7, v31
	v_mul_i32_i24_e32 v5, 9, v8
	ds_load_b32 v16, v0
	ds_load_b32 v81, v0 offset:2400
	ds_load_b32 v82, v22
	ds_load_b32 v83, v0 offset:15200
	s_waitcnt lgkmcnt(0)
	s_barrier
	buffer_gl0_inv
	ds_store_2addr_b32 v10, v67, v70 offset1:10
	ds_store_2addr_b32 v10, v72, v73 offset0:20 offset1:30
	ds_store_2addr_b32 v10, v74, v38 offset0:40 offset1:50
	;; [unrolled: 1-line block ×4, first 2 shown]
	v_lshlrev_b64 v[9:10], 3, v[5:6]
	ds_store_2addr_b32 v39, v19, v32 offset1:10
	ds_store_2addr_b32 v39, v40, v51 offset0:20 offset1:30
	ds_store_2addr_b32 v39, v75, v13 offset0:40 offset1:50
	;; [unrolled: 1-line block ×4, first 2 shown]
	s_waitcnt lgkmcnt(0)
	s_barrier
	buffer_gl0_inv
	v_add_co_u32 v51, s0, s8, v9
	s_delay_alu instid0(VALU_DEP_1)
	v_add_co_ci_u32_e64 v52, s0, s9, v10, s0
	s_clause 0x3
	global_load_b128 v[11:14], v[51:52], off offset:720
	global_load_b128 v[17:20], v[51:52], off offset:736
	;; [unrolled: 1-line block ×4, first 2 shown]
	v_lshrrev_b16 v5, 2, v48
	ds_load_b32 v53, v22
	ds_load_b32 v54, v24
	v_cmp_lt_u32_e64 s0, 0x63, v46
	v_lshlrev_b32_e32 v8, 2, v8
	v_and_b32_e32 v5, 0xffff, v5
	s_delay_alu instid0(VALU_DEP_1) | instskip(NEXT) | instid1(VALU_DEP_1)
	v_mul_u32_u24_e32 v5, 0x147b, v5
	v_lshrrev_b32_e32 v9, 17, v5
	s_delay_alu instid0(VALU_DEP_1) | instskip(NEXT) | instid1(VALU_DEP_1)
	v_mul_lo_u16 v5, 0x64, v9
	v_sub_nc_u16 v5, v48, v5
	s_delay_alu instid0(VALU_DEP_1) | instskip(NEXT) | instid1(VALU_DEP_1)
	v_and_b32_e32 v10, 0xffff, v5
	v_mul_u32_u24_e32 v5, 9, v10
	s_delay_alu instid0(VALU_DEP_1)
	v_lshlrev_b32_e32 v84, 3, v5
	global_load_b128 v[40:43], v84, s[8:9] offset:720
	ds_load_2addr_b32 v[67:68], v28 offset0:40 offset1:240
	ds_load_2addr_b32 v[69:70], v26 offset0:24 offset1:224
	global_load_b64 v[71:72], v[51:52], off offset:784
	ds_load_2addr_b32 v[73:74], v29 offset0:8 offset1:208
	ds_load_2addr_b32 v[75:76], v25 offset0:24 offset1:224
	ds_load_b32 v5, v31
	ds_load_b32 v85, v0 offset:15200
	ds_load_2addr_b32 v[77:78], v30 offset0:40 offset1:240
	ds_load_2addr_b32 v[79:80], v23 offset0:24 offset1:224
	s_waitcnt vmcnt(5) lgkmcnt(9)
	v_mul_f32_e32 v51, v53, v12
	v_mul_f32_e32 v86, v82, v12
	s_waitcnt lgkmcnt(8)
	v_mul_f32_e32 v12, v54, v14
	s_waitcnt vmcnt(4)
	v_mul_f32_e32 v90, v56, v20
	v_mul_f32_e32 v88, v15, v14
	v_fma_f32 v82, v82, v11, -v51
	v_fmac_f32_e32 v86, v53, v11
	v_fma_f32 v87, v15, v13, -v12
	s_waitcnt lgkmcnt(6)
	v_dual_mul_f32 v12, v70, v20 :: v_dual_mul_f32 v11, v68, v18
	v_fmac_f32_e32 v90, v70, v19
	s_waitcnt vmcnt(3)
	v_mul_f32_e32 v70, v60, v35
	v_fmac_f32_e32 v88, v54, v13
	v_fma_f32 v56, v56, v19, -v12
	s_waitcnt lgkmcnt(4)
	v_mul_f32_e32 v12, v76, v35
	global_load_b128 v[51:54], v84, s[8:9] offset:752
	v_fmac_f32_e32 v70, v76, v34
	s_waitcnt vmcnt(3)
	v_mul_f32_e32 v76, v64, v39
	v_fma_f32 v60, v60, v34, -v12
	v_mul_f32_e32 v89, v45, v18
	v_fma_f32 v45, v45, v17, -v11
	s_waitcnt lgkmcnt(0)
	v_dual_mul_f32 v11, v74, v33 :: v_dual_fmac_f32 v76, v80, v38
	v_mul_f32_e32 v12, v80, v39
	v_fmac_f32_e32 v89, v68, v17
	global_load_b128 v[17:20], v84, s[8:9] offset:736
	v_mul_f32_e32 v68, v58, v33
	v_fma_f32 v58, v58, v32, -v11
	v_mul_f32_e32 v11, v78, v37
	v_fma_f32 v64, v64, v38, -v12
	s_delay_alu instid0(VALU_DEP_4) | instskip(SKIP_1) | instid1(VALU_DEP_4)
	v_fmac_f32_e32 v68, v74, v32
	v_mul_f32_e32 v74, v62, v37
	v_fma_f32 v62, v62, v36, -v11
	s_delay_alu instid0(VALU_DEP_2)
	v_fmac_f32_e32 v74, v78, v36
	s_clause 0x1
	global_load_b128 v[32:35], v84, s[8:9] offset:768
	global_load_b64 v[36:37], v84, s[8:9] offset:784
	ds_load_b32 v13, v0 offset:2400
	ds_load_2addr_b32 v[38:39], v27 offset0:8 offset1:208
	s_waitcnt vmcnt(5)
	v_mul_f32_e32 v11, v67, v43
	v_dual_mul_f32 v43, v44, v43 :: v_dual_mul_f32 v12, v81, v41
	s_delay_alu instid0(VALU_DEP_2) | instskip(NEXT) | instid1(VALU_DEP_2)
	v_fma_f32 v78, v44, v42, -v11
	v_fmac_f32_e32 v43, v67, v42
	s_waitcnt lgkmcnt(1)
	s_delay_alu instid0(VALU_DEP_3)
	v_dual_sub_f32 v67, v58, v45 :: v_dual_fmac_f32 v12, v13, v40
	s_waitcnt vmcnt(3)
	v_mul_f32_e32 v42, v77, v54
	v_mul_f32_e32 v44, v61, v54
	v_dual_sub_f32 v54, v88, v76 :: v_dual_mul_f32 v11, v13, v41
	s_waitcnt lgkmcnt(0)
	s_delay_alu instid0(VALU_DEP_2) | instskip(NEXT) | instid1(VALU_DEP_2)
	v_dual_mul_f32 v13, v39, v72 :: v_dual_fmac_f32 v44, v77, v53
	v_fma_f32 v11, v81, v40, -v11
	v_mul_f32_e32 v40, v66, v72
	s_delay_alu instid0(VALU_DEP_3)
	v_fma_f32 v41, v66, v71, -v13
	s_waitcnt vmcnt(2)
	v_mul_f32_e32 v14, v69, v18
	v_mul_f32_e32 v15, v55, v18
	v_dual_mul_f32 v13, v73, v20 :: v_dual_fmac_f32 v40, v39, v71
	v_mul_f32_e32 v18, v57, v20
	s_delay_alu instid0(VALU_DEP_4) | instskip(NEXT) | instid1(VALU_DEP_4)
	v_fma_f32 v39, v55, v17, -v14
	v_dual_mul_f32 v14, v75, v52 :: v_dual_fmac_f32 v15, v69, v17
	s_delay_alu instid0(VALU_DEP_4) | instskip(NEXT) | instid1(VALU_DEP_4)
	v_fma_f32 v17, v57, v19, -v13
	v_dual_fmac_f32 v18, v73, v19 :: v_dual_sub_f32 v55, v87, v56
	s_delay_alu instid0(VALU_DEP_3)
	v_fma_f32 v19, v59, v51, -v14
	v_mul_f32_e32 v14, v59, v52
	s_waitcnt vmcnt(1)
	v_mul_f32_e32 v52, v79, v33
	v_mul_f32_e32 v13, v63, v33
	v_sub_f32_e32 v57, v64, v60
	v_fma_f32 v33, v61, v53, -v42
	v_add_f32_e32 v59, v87, v64
	v_fma_f32 v42, v63, v32, -v52
	v_fmac_f32_e32 v14, v75, v51
	v_add_f32_e32 v55, v55, v57
	v_fmac_f32_e32 v13, v79, v32
	v_add_f32_e32 v32, v56, v60
	s_waitcnt vmcnt(0)
	v_dual_mul_f32 v52, v85, v37 :: v_dual_add_f32 v53, v16, v87
	ds_load_b32 v20, v0
	v_sub_f32_e32 v57, v56, v87
	v_fma_f32 v32, -0.5, v32, v16
	v_fmac_f32_e32 v16, -0.5, v59
	v_mul_f32_e32 v51, v38, v35
	v_mul_f32_e32 v35, v65, v35
	v_sub_f32_e32 v69, v62, v41
	s_waitcnt lgkmcnt(0)
	s_barrier
	v_fma_f32 v51, v65, v34, -v51
	v_fmac_f32_e32 v35, v38, v34
	v_fma_f32 v34, v83, v36, -v52
	v_add_f32_e32 v38, v53, v56
	v_fmamk_f32 v52, v54, 0x3f737871, v32
	v_fmac_f32_e32 v32, 0xbf737871, v54
	v_dual_sub_f32 v56, v56, v60 :: v_dual_sub_f32 v53, v90, v70
	v_add_f32_e32 v63, v90, v70
	v_dual_add_f32 v38, v38, v60 :: v_dual_sub_f32 v65, v41, v62
	s_delay_alu instid0(VALU_DEP_3) | instskip(SKIP_3) | instid1(VALU_DEP_1)
	v_dual_add_f32 v61, v20, v88 :: v_dual_fmac_f32 v32, 0xbf167918, v53
	buffer_gl0_inv
	v_fmac_f32_e32 v32, 0x3e9e377a, v55
	v_fmac_f32_e32 v52, 0x3f167918, v53
	v_dual_fmac_f32 v52, 0x3e9e377a, v55 :: v_dual_add_f32 v55, v88, v76
	v_sub_f32_e32 v59, v60, v64
	s_delay_alu instid0(VALU_DEP_1) | instskip(SKIP_3) | instid1(VALU_DEP_1)
	v_dual_sub_f32 v60, v88, v90 :: v_dual_add_f32 v57, v57, v59
	v_fma_f32 v59, -0.5, v63, v20
	v_mul_f32_e32 v37, v83, v37
	v_dual_sub_f32 v63, v76, v70 :: v_dual_fmac_f32 v20, -0.5, v55
	v_dual_add_f32 v55, v60, v63 :: v_dual_sub_f32 v60, v90, v88
	s_delay_alu instid0(VALU_DEP_3) | instskip(SKIP_4) | instid1(VALU_DEP_3)
	v_fmac_f32_e32 v37, v85, v36
	v_add_f32_e32 v36, v38, v64
	v_fmamk_f32 v38, v53, 0xbf737871, v16
	v_dual_fmac_f32 v16, 0x3f737871, v53 :: v_dual_add_f32 v53, v61, v90
	v_sub_f32_e32 v63, v70, v76
	v_dual_sub_f32 v61, v87, v64 :: v_dual_fmac_f32 v38, 0x3f167918, v54
	s_delay_alu instid0(VALU_DEP_3) | instskip(SKIP_1) | instid1(VALU_DEP_4)
	v_fmac_f32_e32 v16, 0xbf167918, v54
	v_add_f32_e32 v64, v82, v45
	v_add_f32_e32 v60, v60, v63
	s_delay_alu instid0(VALU_DEP_4)
	v_fmamk_f32 v54, v61, 0xbf737871, v59
	v_fmac_f32_e32 v38, 0x3e9e377a, v57
	v_fmac_f32_e32 v16, 0x3e9e377a, v57
	v_fmamk_f32 v57, v56, 0x3f737871, v20
	v_dual_fmac_f32 v20, 0xbf737871, v56 :: v_dual_add_f32 v53, v53, v70
	v_fmac_f32_e32 v59, 0x3f737871, v61
	s_delay_alu instid0(VALU_DEP_3) | instskip(NEXT) | instid1(VALU_DEP_3)
	v_dual_fmac_f32 v54, 0xbf167918, v56 :: v_dual_fmac_f32 v57, 0xbf167918, v61
	v_dual_fmac_f32 v20, 0x3f167918, v61 :: v_dual_add_f32 v53, v53, v76
	s_delay_alu instid0(VALU_DEP_2) | instskip(NEXT) | instid1(VALU_DEP_2)
	v_fmac_f32_e32 v57, 0x3e9e377a, v60
	v_fmac_f32_e32 v20, 0x3e9e377a, v60
	v_dual_sub_f32 v60, v68, v74 :: v_dual_fmac_f32 v59, 0x3f167918, v56
	v_add_f32_e32 v56, v64, v58
	v_add_f32_e32 v63, v58, v62
	v_sub_f32_e32 v64, v45, v58
	v_fmac_f32_e32 v54, 0x3e9e377a, v55
	v_sub_f32_e32 v58, v58, v62
	s_delay_alu instid0(VALU_DEP_3)
	v_dual_add_f32 v64, v64, v65 :: v_dual_fmac_f32 v59, 0x3e9e377a, v55
	v_add_f32_e32 v55, v56, v62
	v_fma_f32 v56, -0.5, v63, v82
	v_add_f32_e32 v65, v67, v69
	v_sub_f32_e32 v63, v89, v40
	v_add_f32_e32 v61, v45, v41
	s_delay_alu instid0(VALU_DEP_1) | instskip(NEXT) | instid1(VALU_DEP_1)
	v_fmac_f32_e32 v82, -0.5, v61
	v_fmamk_f32 v66, v60, 0xbf737871, v82
	v_fmac_f32_e32 v82, 0x3f737871, v60
	s_delay_alu instid0(VALU_DEP_1) | instskip(NEXT) | instid1(VALU_DEP_1)
	v_fmac_f32_e32 v82, 0xbf167918, v63
	v_fmac_f32_e32 v82, 0x3e9e377a, v65
	s_delay_alu instid0(VALU_DEP_4) | instskip(SKIP_3) | instid1(VALU_DEP_2)
	v_fmac_f32_e32 v66, 0x3f167918, v63
	v_fmamk_f32 v61, v63, 0x3f737871, v56
	v_dual_fmac_f32 v56, 0xbf737871, v63 :: v_dual_sub_f32 v67, v68, v89
	v_add_f32_e32 v63, v89, v40
	v_dual_fmac_f32 v56, 0xbf167918, v60 :: v_dual_add_f32 v55, v55, v41
	v_sub_f32_e32 v41, v45, v41
	v_sub_f32_e32 v69, v74, v40
	v_dual_fmac_f32 v61, 0x3f167918, v60 :: v_dual_add_f32 v60, v68, v74
	s_delay_alu instid0(VALU_DEP_4) | instskip(NEXT) | instid1(VALU_DEP_2)
	v_dual_add_f32 v45, v86, v89 :: v_dual_fmac_f32 v56, 0x3e9e377a, v64
	v_fma_f32 v60, -0.5, v60, v86
	v_dual_fmac_f32 v86, -0.5, v63 :: v_dual_sub_f32 v63, v89, v68
	s_delay_alu instid0(VALU_DEP_2) | instskip(SKIP_1) | instid1(VALU_DEP_2)
	v_fmamk_f32 v62, v41, 0xbf737871, v60
	v_fmac_f32_e32 v60, 0x3f737871, v41
	v_fmac_f32_e32 v62, 0xbf167918, v58
	v_dual_fmac_f32 v61, 0x3e9e377a, v64 :: v_dual_fmac_f32 v66, 0x3e9e377a, v65
	v_dual_sub_f32 v64, v40, v74 :: v_dual_fmamk_f32 v65, v58, 0x3f737871, v86
	v_fmac_f32_e32 v86, 0xbf737871, v58
	s_delay_alu instid0(VALU_DEP_2) | instskip(NEXT) | instid1(VALU_DEP_3)
	v_dual_fmac_f32 v60, 0x3f167918, v58 :: v_dual_add_f32 v63, v63, v64
	v_fmac_f32_e32 v65, 0xbf167918, v41
	s_delay_alu instid0(VALU_DEP_3) | instskip(SKIP_1) | instid1(VALU_DEP_1)
	v_fmac_f32_e32 v86, 0x3f167918, v41
	v_add_f32_e32 v64, v67, v69
	v_fmac_f32_e32 v65, 0x3e9e377a, v64
	s_delay_alu instid0(VALU_DEP_3) | instskip(SKIP_1) | instid1(VALU_DEP_3)
	v_fmac_f32_e32 v86, 0x3e9e377a, v64
	v_mul_f32_e32 v64, 0x3e9e377a, v82
	v_dual_mul_f32 v58, 0x3f737871, v65 :: v_dual_add_f32 v45, v45, v68
	v_fmac_f32_e32 v60, 0x3e9e377a, v63
	v_fmac_f32_e32 v62, 0x3e9e377a, v63
	v_mul_f32_e32 v70, 0x3e9e377a, v86
	s_delay_alu instid0(VALU_DEP_4) | instskip(SKIP_2) | instid1(VALU_DEP_3)
	v_fmac_f32_e32 v58, 0x3e9e377a, v66
	v_mul_f32_e32 v66, 0xbf737871, v66
	v_dual_add_f32 v41, v45, v74 :: v_dual_add_f32 v74, v18, v44
	v_add_f32_e32 v68, v38, v58
	s_delay_alu instid0(VALU_DEP_3) | instskip(SKIP_2) | instid1(VALU_DEP_2)
	v_fmac_f32_e32 v66, 0x3e9e377a, v65
	v_dual_mul_f32 v63, 0x3f4f1bbd, v56 :: v_dual_sub_f32 v38, v38, v58
	v_sub_f32_e32 v58, v18, v44
	v_fma_f32 v63, 0x3f167918, v60, -v63
	v_mul_f32_e32 v60, 0x3f4f1bbd, v60
	v_dual_add_f32 v40, v41, v40 :: v_dual_mul_f32 v45, 0x3f167918, v62
	v_fma_f32 v41, 0x3f737871, v86, -v64
	v_add_f32_e32 v64, v36, v55
	s_delay_alu instid0(VALU_DEP_4) | instskip(NEXT) | instid1(VALU_DEP_4)
	v_fma_f32 v56, 0xbf167918, v56, -v60
	v_dual_add_f32 v60, v53, v40 :: v_dual_fmac_f32 v45, 0x3f4f1bbd, v61
	v_mul_f32_e32 v61, 0xbf167918, v61
	v_add_f32_e32 v69, v16, v41
	v_sub_f32_e32 v36, v36, v55
	v_dual_sub_f32 v16, v16, v41 :: v_dual_sub_f32 v55, v43, v35
	v_add_f32_e32 v67, v52, v45
	v_dual_sub_f32 v45, v52, v45 :: v_dual_sub_f32 v40, v53, v40
	v_dual_add_f32 v52, v17, v33 :: v_dual_add_f32 v41, v7, v78
	v_fmac_f32_e32 v61, 0x3f4f1bbd, v62
	v_fma_f32 v62, 0xbf737871, v82, -v70
	v_add_f32_e32 v73, v59, v56
	s_delay_alu instid0(VALU_DEP_4) | instskip(NEXT) | instid1(VALU_DEP_4)
	v_fma_f32 v52, -0.5, v52, v7
	v_dual_add_f32 v70, v57, v66 :: v_dual_add_f32 v65, v54, v61
	v_dual_sub_f32 v53, v54, v61 :: v_dual_sub_f32 v54, v57, v66
	v_add_f32_e32 v41, v41, v17
	s_delay_alu instid0(VALU_DEP_4)
	v_dual_fmamk_f32 v57, v55, 0x3f737871, v52 :: v_dual_add_f32 v66, v78, v51
	v_add_f32_e32 v71, v32, v63
	v_add_f32_e32 v72, v20, v62
	v_dual_sub_f32 v32, v32, v63 :: v_dual_sub_f32 v61, v78, v17
	v_sub_f32_e32 v62, v20, v62
	v_dual_add_f32 v20, v41, v33 :: v_dual_fmac_f32 v57, 0x3f167918, v58
	v_sub_f32_e32 v63, v51, v33
	v_dual_fmac_f32 v7, -0.5, v66 :: v_dual_fmac_f32 v52, 0xbf737871, v55
	s_delay_alu instid0(VALU_DEP_3) | instskip(NEXT) | instid1(VALU_DEP_3)
	v_add_f32_e32 v20, v20, v51
	v_dual_sub_f32 v56, v59, v56 :: v_dual_add_f32 v41, v61, v63
	v_sub_f32_e32 v61, v17, v78
	s_delay_alu instid0(VALU_DEP_4) | instskip(NEXT) | instid1(VALU_DEP_3)
	v_dual_sub_f32 v63, v33, v51 :: v_dual_fmac_f32 v52, 0xbf167918, v58
	v_dual_add_f32 v66, v5, v43 :: v_dual_fmac_f32 v57, 0x3e9e377a, v41
	v_fmamk_f32 v59, v58, 0xbf737871, v7
	s_delay_alu instid0(VALU_DEP_3) | instskip(SKIP_1) | instid1(VALU_DEP_4)
	v_add_f32_e32 v61, v61, v63
	v_fmac_f32_e32 v7, 0x3f737871, v58
	v_add_f32_e32 v58, v66, v18
	v_dual_sub_f32 v51, v78, v51 :: v_dual_fmac_f32 v52, 0x3e9e377a, v41
	v_sub_f32_e32 v17, v17, v33
	v_fma_f32 v63, -0.5, v74, v5
	s_delay_alu instid0(VALU_DEP_4) | instskip(SKIP_2) | instid1(VALU_DEP_3)
	v_dual_add_f32 v41, v58, v44 :: v_dual_add_f32 v58, v43, v35
	v_dual_fmac_f32 v59, 0x3f167918, v55 :: v_dual_sub_f32 v66, v35, v44
	v_sub_f32_e32 v74, v42, v34
	v_fmac_f32_e32 v5, -0.5, v58
	s_delay_alu instid0(VALU_DEP_1) | instskip(NEXT) | instid1(VALU_DEP_1)
	v_fmamk_f32 v58, v17, 0x3f737871, v5
	v_fmac_f32_e32 v58, 0xbf167918, v51
	v_add_f32_e32 v41, v41, v35
	v_sub_f32_e32 v35, v44, v35
	v_sub_f32_e32 v44, v39, v19
	v_dual_sub_f32 v33, v43, v18 :: v_dual_sub_f32 v18, v18, v43
	v_fmac_f32_e32 v5, 0xbf737871, v17
	v_fmac_f32_e32 v59, 0x3e9e377a, v61
	;; [unrolled: 1-line block ×3, first 2 shown]
	s_delay_alu instid0(VALU_DEP_4) | instskip(NEXT) | instid1(VALU_DEP_4)
	v_dual_fmamk_f32 v55, v51, 0xbf737871, v63 :: v_dual_add_f32 v18, v18, v35
	v_fmac_f32_e32 v5, 0x3f167918, v51
	v_fmac_f32_e32 v63, 0x3f737871, v51
	v_add_f32_e32 v43, v11, v39
	s_delay_alu instid0(VALU_DEP_4)
	v_fmac_f32_e32 v55, 0xbf167918, v17
	v_fmac_f32_e32 v58, 0x3e9e377a, v18
	v_dual_fmac_f32 v5, 0x3e9e377a, v18 :: v_dual_sub_f32 v18, v14, v13
	v_fmac_f32_e32 v7, 0x3e9e377a, v61
	v_sub_f32_e32 v51, v34, v42
	v_fmac_f32_e32 v63, 0x3f167918, v17
	s_delay_alu instid0(VALU_DEP_2) | instskip(SKIP_1) | instid1(VALU_DEP_1)
	v_dual_add_f32 v35, v19, v42 :: v_dual_add_f32 v44, v44, v51
	v_dual_add_f32 v33, v33, v66 :: v_dual_sub_f32 v66, v19, v39
	v_fmac_f32_e32 v55, 0x3e9e377a, v33
	s_delay_alu instid0(VALU_DEP_4) | instskip(NEXT) | instid1(VALU_DEP_4)
	v_fmac_f32_e32 v63, 0x3e9e377a, v33
	v_fma_f32 v33, -0.5, v35, v11
	v_add_f32_e32 v35, v39, v34
	v_dual_add_f32 v51, v66, v74 :: v_dual_sub_f32 v66, v13, v37
	v_add_f32_e32 v17, v43, v19
	v_sub_f32_e32 v43, v15, v37
	s_delay_alu instid0(VALU_DEP_4) | instskip(SKIP_1) | instid1(VALU_DEP_4)
	v_fmac_f32_e32 v11, -0.5, v35
	v_sub_f32_e32 v19, v19, v42
	v_add_f32_e32 v17, v17, v42
	s_delay_alu instid0(VALU_DEP_4) | instskip(SKIP_3) | instid1(VALU_DEP_4)
	v_fmamk_f32 v35, v43, 0x3f737871, v33
	v_fmac_f32_e32 v33, 0xbf737871, v43
	v_fmamk_f32 v61, v18, 0xbf737871, v11
	v_fmac_f32_e32 v11, 0x3f737871, v18
	v_fmac_f32_e32 v35, 0x3f167918, v18
	s_delay_alu instid0(VALU_DEP_4) | instskip(NEXT) | instid1(VALU_DEP_4)
	v_dual_fmac_f32 v33, 0xbf167918, v18 :: v_dual_add_f32 v18, v14, v13
	v_fmac_f32_e32 v61, 0x3f167918, v43
	s_delay_alu instid0(VALU_DEP_4) | instskip(NEXT) | instid1(VALU_DEP_4)
	v_fmac_f32_e32 v11, 0xbf167918, v43
	v_fmac_f32_e32 v35, 0x3e9e377a, v44
	v_add_f32_e32 v17, v17, v34
	v_add_f32_e32 v43, v15, v37
	v_fma_f32 v18, -0.5, v18, v12
	v_dual_sub_f32 v34, v39, v34 :: v_dual_fmac_f32 v33, 0x3e9e377a, v44
	v_add_f32_e32 v39, v12, v15
	s_delay_alu instid0(VALU_DEP_4) | instskip(NEXT) | instid1(VALU_DEP_3)
	v_dual_fmac_f32 v12, -0.5, v43 :: v_dual_sub_f32 v43, v15, v14
	v_fmamk_f32 v42, v34, 0xbf737871, v18
	v_dual_sub_f32 v44, v37, v13 :: v_dual_fmac_f32 v61, 0x3e9e377a, v51
	v_fmac_f32_e32 v11, 0x3e9e377a, v51
	s_delay_alu instid0(VALU_DEP_4) | instskip(SKIP_1) | instid1(VALU_DEP_4)
	v_fmamk_f32 v51, v19, 0x3f737871, v12
	v_sub_f32_e32 v15, v14, v15
	v_dual_fmac_f32 v42, 0xbf167918, v19 :: v_dual_add_f32 v43, v43, v44
	v_fmac_f32_e32 v12, 0xbf737871, v19
	v_add_f32_e32 v14, v39, v14
	s_delay_alu instid0(VALU_DEP_4) | instskip(SKIP_2) | instid1(VALU_DEP_4)
	v_add_f32_e32 v15, v15, v66
	v_fmac_f32_e32 v18, 0x3f737871, v34
	v_fmac_f32_e32 v42, 0x3e9e377a, v43
	v_dual_fmac_f32 v12, 0x3f167918, v34 :: v_dual_add_f32 v13, v14, v13
	v_fmac_f32_e32 v51, 0xbf167918, v34
	s_delay_alu instid0(VALU_DEP_4) | instskip(NEXT) | instid1(VALU_DEP_4)
	v_fmac_f32_e32 v18, 0x3f167918, v19
	v_mul_f32_e32 v14, 0x3f167918, v42
	s_delay_alu instid0(VALU_DEP_4)
	v_fmac_f32_e32 v12, 0x3e9e377a, v15
	v_mul_f32_e32 v19, 0x3e9e377a, v11
	v_mul_f32_e32 v34, 0x3f4f1bbd, v33
	v_fmac_f32_e32 v18, 0x3e9e377a, v43
	v_fmac_f32_e32 v14, 0x3f4f1bbd, v35
	v_mul_f32_e32 v35, 0xbf167918, v35
	v_fma_f32 v19, 0x3f737871, v12, -v19
	v_dual_mul_f32 v12, 0x3e9e377a, v12 :: v_dual_fmac_f32 v51, 0x3e9e377a, v15
	s_delay_alu instid0(VALU_DEP_4) | instskip(SKIP_2) | instid1(VALU_DEP_4)
	v_add_f32_e32 v39, v57, v14
	v_fma_f32 v34, 0x3f167918, v18, -v34
	v_fmac_f32_e32 v35, 0x3f4f1bbd, v42
	v_fma_f32 v42, 0xbf737871, v11, -v12
	v_sub_f32_e32 v12, v57, v14
	v_cndmask_b32_e64 v14, 0, 0xfa0, s0
	v_mul_f32_e32 v15, 0x3f737871, v51
	v_add_f32_e32 v13, v13, v37
	v_add_f32_e32 v37, v20, v17
	;; [unrolled: 1-line block ×3, first 2 shown]
	v_sub_f32_e32 v11, v20, v17
	v_sub_f32_e32 v17, v52, v34
	v_add3_u32 v52, 0, v14, v8
	v_mul_u32_u24_e32 v8, 0xfa0, v9
	v_lshlrev_b32_e32 v9, 2, v10
	v_dual_fmac_f32 v15, 0x3e9e377a, v61 :: v_dual_add_f32 v44, v7, v19
	s_delay_alu instid0(VALU_DEP_4)
	v_add_nc_u32_e32 v57, 0x200, v52
	ds_store_2addr_b32 v52, v64, v67 offset1:100
	v_add3_u32 v79, 0, v8, v9
	v_add_f32_e32 v43, v59, v15
	v_sub_f32_e32 v15, v59, v15
	v_add_nc_u32_e32 v59, 0x400, v52
	v_add_nc_u32_e32 v64, 0x800, v52
	;; [unrolled: 1-line block ×3, first 2 shown]
	v_mul_f32_e32 v61, 0xbf737871, v61
	v_mul_f32_e32 v18, 0x3f4f1bbd, v18
	ds_store_2addr_b32 v57, v68, v69 offset0:72 offset1:172
	ds_store_2addr_b32 v59, v71, v36 offset0:144 offset1:244
	;; [unrolled: 1-line block ×4, first 2 shown]
	v_add_nc_u32_e32 v68, 0x800, v79
	v_add_nc_u32_e32 v38, 0x200, v79
	;; [unrolled: 1-line block ×3, first 2 shown]
	v_sub_f32_e32 v7, v7, v19
	v_add_nc_u32_e32 v69, 0xc00, v79
	ds_store_2addr_b32 v79, v37, v39 offset1:100
	ds_store_2addr_b32 v38, v43, v44 offset0:72 offset1:172
	ds_store_2addr_b32 v45, v66, v11 offset0:144 offset1:244
	;; [unrolled: 1-line block ×4, first 2 shown]
	v_lshl_add_u32 v37, v50, 2, 0
	v_fmac_f32_e32 v61, 0x3e9e377a, v51
	v_fma_f32 v51, 0xbf167918, v33, -v18
	v_dual_add_f32 v74, v41, v13 :: v_dual_add_f32 v75, v55, v35
	v_sub_f32_e32 v41, v41, v13
	v_sub_f32_e32 v55, v55, v35
	s_waitcnt lgkmcnt(0)
	s_barrier
	buffer_gl0_inv
	ds_load_b32 v34, v0
	ds_load_2addr_b32 v[7:8], v28 offset0:40 offset1:240
	ds_load_2addr_b32 v[19:20], v29 offset0:8 offset1:208
	;; [unrolled: 1-line block ×7, first 2 shown]
	ds_load_b32 v31, v31
	ds_load_b32 v33, v37
	;; [unrolled: 1-line block ×4, first 2 shown]
	ds_load_b32 v36, v0 offset:15200
	v_dual_add_f32 v76, v58, v61 :: v_dual_add_f32 v77, v5, v42
	v_dual_add_f32 v78, v63, v51 :: v_dual_sub_f32 v39, v58, v61
	v_dual_sub_f32 v5, v5, v42 :: v_dual_sub_f32 v42, v63, v51
	s_waitcnt lgkmcnt(0)
	s_barrier
	buffer_gl0_inv
	ds_store_2addr_b32 v52, v60, v65 offset1:100
	ds_store_2addr_b32 v57, v70, v72 offset0:72 offset1:172
	ds_store_2addr_b32 v59, v73, v40 offset0:144 offset1:244
	;; [unrolled: 1-line block ×4, first 2 shown]
	ds_store_2addr_b32 v79, v74, v75 offset1:100
	ds_store_2addr_b32 v38, v76, v77 offset0:72 offset1:172
	ds_store_2addr_b32 v45, v78, v41 offset0:144 offset1:244
	;; [unrolled: 1-line block ×4, first 2 shown]
	s_waitcnt lgkmcnt(0)
	s_barrier
	buffer_gl0_inv
	s_and_saveexec_b32 s0, vcc_lo
	s_cbranch_execz .LBB0_15
; %bb.14:
	v_mul_u32_u24_e32 v5, 3, v46
	v_mul_lo_u32 v71, s2, v4
	v_mul_hi_u32 v4, 0x10624dd3, v46
	v_mul_i32_i24_e32 v77, 0xffffffdc, v48
	v_lshlrev_b64 v[1:2], 3, v[1:2]
	v_lshlrev_b32_e32 v38, 3, v5
	v_mul_i32_i24_e32 v5, 3, v49
	v_lshrrev_b32_e32 v76, 6, v4
	s_delay_alu instid0(VALU_DEP_3) | instskip(NEXT) | instid1(VALU_DEP_1)
	v_add_co_u32 v55, s0, s8, v38
	v_add_co_ci_u32_e64 v56, null, s9, 0, s0
	s_delay_alu instid0(VALU_DEP_4) | instskip(NEXT) | instid1(VALU_DEP_3)
	v_lshlrev_b64 v[38:39], 3, v[5:6]
	v_add_co_u32 v40, vcc_lo, 0x1000, v55
	v_mul_i32_i24_e32 v5, 3, v50
	s_delay_alu instid0(VALU_DEP_4) | instskip(NEXT) | instid1(VALU_DEP_4)
	v_add_co_ci_u32_e32 v41, vcc_lo, 0, v56, vcc_lo
	v_add_co_u32 v53, vcc_lo, s8, v38
	v_add_co_ci_u32_e32 v54, vcc_lo, s9, v39, vcc_lo
	s_delay_alu instid0(VALU_DEP_4) | instskip(NEXT) | instid1(VALU_DEP_3)
	v_lshlrev_b64 v[49:50], 3, v[5:6]
	v_add_co_u32 v42, vcc_lo, 0x1000, v53
	s_delay_alu instid0(VALU_DEP_3)
	v_add_co_ci_u32_e32 v43, vcc_lo, 0, v54, vcc_lo
	global_load_b128 v[38:41], v[40:41], off offset:3824
	v_add_co_u32 v57, vcc_lo, s8, v49
	global_load_b128 v[42:45], v[42:43], off offset:3824
	v_add_co_ci_u32_e32 v58, vcc_lo, s9, v50, vcc_lo
	v_add_co_u32 v49, vcc_lo, 0x1000, v57
	v_mul_i32_i24_e32 v5, 3, v47
	s_delay_alu instid0(VALU_DEP_3)
	v_add_co_ci_u32_e32 v50, vcc_lo, 0, v58, vcc_lo
	v_add_co_u32 v53, vcc_lo, 0x1ef0, v53
	v_add_co_ci_u32_e32 v54, vcc_lo, 0, v54, vcc_lo
	v_add_co_u32 v55, vcc_lo, 0x1ef0, v55
	v_add_co_ci_u32_e32 v56, vcc_lo, 0, v56, vcc_lo
	s_clause 0x1
	global_load_b128 v[49:52], v[49:50], off offset:3824
	global_load_b64 v[61:62], v[53:54], off offset:16
	v_add_co_u32 v53, vcc_lo, 0x1ef0, v57
	v_add_co_ci_u32_e32 v54, vcc_lo, 0, v58, vcc_lo
	s_clause 0x1
	global_load_b64 v[63:64], v[55:56], off offset:16
	global_load_b64 v[65:66], v[53:54], off offset:16
	v_lshlrev_b64 v[55:56], 3, v[5:6]
	s_delay_alu instid0(VALU_DEP_1) | instskip(NEXT) | instid1(VALU_DEP_2)
	v_add_co_u32 v5, vcc_lo, s8, v55
	v_add_co_ci_u32_e32 v47, vcc_lo, s9, v56, vcc_lo
	s_delay_alu instid0(VALU_DEP_2) | instskip(NEXT) | instid1(VALU_DEP_2)
	v_add_co_u32 v53, vcc_lo, 0x1000, v5
	v_add_co_ci_u32_e32 v54, vcc_lo, 0, v47, vcc_lo
	v_add_co_u32 v57, vcc_lo, 0x1ef0, v5
	v_mul_i32_i24_e32 v5, 3, v48
	v_add_co_ci_u32_e32 v58, vcc_lo, 0, v47, vcc_lo
	global_load_b128 v[53:56], v[53:54], off offset:3824
	v_lshlrev_b64 v[5:6], 3, v[5:6]
	global_load_b64 v[67:68], v[57:58], off offset:16
	v_add_co_u32 v47, vcc_lo, s8, v5
	v_add_co_ci_u32_e32 v57, vcc_lo, s9, v6, vcc_lo
	s_delay_alu instid0(VALU_DEP_2) | instskip(NEXT) | instid1(VALU_DEP_2)
	v_add_co_u32 v5, vcc_lo, 0x1000, v47
	v_add_co_ci_u32_e32 v6, vcc_lo, 0, v57, vcc_lo
	v_add_co_u32 v69, vcc_lo, 0x1ef0, v47
	v_add_co_ci_u32_e32 v70, vcc_lo, 0, v57, vcc_lo
	s_clause 0x1
	global_load_b128 v[57:60], v[5:6], off offset:3824
	global_load_b64 v[5:6], v[69:70], off offset:16
	v_mul_lo_u32 v47, s3, v3
	v_mad_u64_u32 v[69:70], null, s2, v3, 0
	ds_load_2addr_b32 v[3:4], v30 offset0:40 offset1:240
	ds_load_2addr_b32 v[29:30], v29 offset0:8 offset1:208
	v_add_nc_u32_e32 v72, 0xc8, v46
	v_add3_u32 v70, v70, v71, v47
	ds_load_2addr_b32 v[47:48], v28 offset0:40 offset1:240
	v_mul_u32_u24_e32 v28, 0x3e8, v76
	v_lshlrev_b64 v[69:70], 3, v[69:70]
	s_delay_alu instid0(VALU_DEP_2) | instskip(NEXT) | instid1(VALU_DEP_2)
	v_sub_nc_u32_e32 v78, v46, v28
	v_add_co_u32 v76, vcc_lo, s6, v69
	s_delay_alu instid0(VALU_DEP_2) | instskip(NEXT) | instid1(VALU_DEP_4)
	v_add_nc_u32_e32 v81, 0x7d0, v78
	v_add_co_ci_u32_e32 v79, vcc_lo, s7, v70, vcc_lo
	v_mad_u64_u32 v[69:70], null, s12, v78, 0
	v_add_nc_u32_e32 v73, 0x190, v46
	v_add_nc_u32_e32 v82, 0xbb8, v78
	v_add_co_u32 v84, vcc_lo, v76, v1
	v_add_co_ci_u32_e32 v79, vcc_lo, v79, v2, vcc_lo
	s_waitcnt vmcnt(9)
	v_mul_f32_e32 v86, v20, v41
	s_waitcnt lgkmcnt(1)
	v_mul_f32_e32 v41, v30, v41
	v_mul_hi_u32 v74, 0x10624dd3, v72
	v_dual_mul_f32 v87, v7, v39 :: v_dual_add_nc_u32 v80, 0x3e8, v78
	s_delay_alu instid0(VALU_DEP_3) | instskip(SKIP_1) | instid1(VALU_DEP_2)
	v_fma_f32 v90, v20, v40, -v41
	s_waitcnt lgkmcnt(0)
	v_fmac_f32_e32 v87, v38, v47
	s_delay_alu instid0(VALU_DEP_3) | instskip(SKIP_1) | instid1(VALU_DEP_1)
	v_mad_u64_u32 v[1:2], null, s12, v80, 0
	v_lshrrev_b32_e32 v74, 6, v74
	v_mul_u32_u24_e32 v28, 0x3e8, v74
	s_delay_alu instid0(VALU_DEP_1) | instskip(NEXT) | instid1(VALU_DEP_1)
	v_sub_nc_u32_e32 v28, v72, v28
	v_mad_u32_u24 v85, 0xfa0, v74, v28
	v_mov_b32_e32 v28, v70
	v_mul_hi_u32 v75, 0x10624dd3, v73
	v_mul_f32_e32 v70, v47, v39
	s_waitcnt vmcnt(8)
	v_dual_mul_f32 v47, v19, v43 :: v_dual_add_nc_u32 v88, 0x3e8, v85
	s_delay_alu instid0(VALU_DEP_1) | instskip(NEXT) | instid1(VALU_DEP_4)
	v_fmac_f32_e32 v47, v42, v29
	v_lshrrev_b32_e32 v75, 6, v75
	v_fma_f32 v89, v7, v38, -v70
	v_mul_f32_e32 v7, v29, v43
	v_mad_u64_u32 v[38:39], null, s13, v78, v[28:29]
	s_delay_alu instid0(VALU_DEP_4) | instskip(SKIP_1) | instid1(VALU_DEP_4)
	v_mul_u32_u24_e32 v71, 0x3e8, v75
	v_mul_f32_e32 v28, v4, v45
	v_fma_f32 v91, v19, v42, -v7
	s_delay_alu instid0(VALU_DEP_3) | instskip(SKIP_2) | instid1(VALU_DEP_3)
	v_sub_nc_u32_e32 v83, v73, v71
	v_mad_u64_u32 v[71:72], null, s12, v81, 0
	v_mad_u64_u32 v[73:74], null, s12, v82, 0
	v_mad_u32_u24 v83, 0xfa0, v75, v83
	v_fmac_f32_e32 v86, v30, v40
	v_fma_f32 v92, v18, v44, -v28
	v_mad_u64_u32 v[75:76], null, s12, v85, 0
	v_mov_b32_e32 v7, v72
	v_mad_u64_u32 v[39:40], null, s12, v83, 0
	v_mul_f32_e32 v78, v18, v45
	v_mad_u64_u32 v[18:19], null, s12, v88, 0
	v_mad_u64_u32 v[28:29], null, s13, v80, v[2:3]
	s_delay_alu instid0(VALU_DEP_3)
	v_fmac_f32_e32 v78, v4, v44
	v_mov_b32_e32 v4, v74
	v_mad_u64_u32 v[29:30], null, s13, v81, v[7:8]
	v_dual_mov_b32 v7, v76 :: v_dual_add_nc_u32 v20, 0x7d0, v85
	v_mov_b32_e32 v2, v28
	v_mov_b32_e32 v70, v38
	s_waitcnt vmcnt(0)
	v_mad_u64_u32 v[41:42], null, s13, v82, v[4:5]
	v_dual_mov_b32 v4, v19 :: v_dual_mov_b32 v19, v40
	v_mov_b32_e32 v72, v29
	v_mad_u64_u32 v[42:43], null, s12, v20, 0
	s_delay_alu instid0(VALU_DEP_3)
	v_mad_u64_u32 v[28:29], null, s13, v88, v[4:5]
	v_mad_u64_u32 v[29:30], null, s13, v85, v[7:8]
	v_mov_b32_e32 v74, v41
	v_mad_u64_u32 v[40:41], null, s13, v83, v[19:20]
	v_dual_mov_b32 v4, v43 :: v_dual_add_nc_u32 v41, 0xbb8, v85
	ds_load_b32 v7, v0 offset:15200
	ds_load_b32 v80, v37
	v_mov_b32_e32 v76, v29
	v_mad_u64_u32 v[29:30], null, s12, v41, 0
	v_mad_u64_u32 v[43:44], null, s13, v20, v[4:5]
	v_lshlrev_b64 v[19:20], 3, v[69:70]
	v_lshlrev_b64 v[1:2], 3, v[1:2]
	ds_load_2addr_b32 v[44:45], v26 offset0:24 offset1:224
	ds_load_2addr_b32 v[26:27], v27 offset0:8 offset1:208
	ds_load_b32 v81, v24
	ds_load_b32 v82, v22
	ds_load_2addr_b32 v[22:23], v23 offset0:24 offset1:224
	v_mov_b32_e32 v4, v30
	ds_load_2addr_b32 v[24:25], v25 offset0:24 offset1:224
	v_add_co_u32 v37, vcc_lo, v84, v19
	v_add_co_ci_u32_e32 v38, vcc_lo, v79, v20, vcc_lo
	v_mad_u64_u32 v[69:70], null, s13, v41, v[4:5]
	v_add_nc_u32_e32 v4, v21, v77
	v_lshlrev_b64 v[20:21], 3, v[71:72]
	v_add_co_u32 v1, vcc_lo, v84, v1
	v_add_nc_u32_e32 v77, 0x7d0, v83
	v_lshlrev_b64 v[70:71], 3, v[73:74]
	v_add_co_ci_u32_e32 v2, vcc_lo, v79, v2, vcc_lo
	v_lshlrev_b64 v[72:73], 3, v[75:76]
	v_add_co_u32 v20, vcc_lo, v84, v20
	v_add_co_ci_u32_e32 v21, vcc_lo, v79, v21, vcc_lo
	v_mov_b32_e32 v30, v69
	v_add_co_u32 v69, vcc_lo, v84, v70
	v_add_co_ci_u32_e32 v70, vcc_lo, v79, v71, vcc_lo
	v_add_co_u32 v71, vcc_lo, v84, v72
	v_add_co_ci_u32_e32 v72, vcc_lo, v79, v73, vcc_lo
	v_mul_f32_e32 v73, v17, v52
	v_lshlrev_b64 v[41:42], 3, v[42:43]
	ds_load_b32 v43, v0
	ds_load_b32 v74, v4
	v_mul_f32_e32 v0, v3, v52
	v_dual_mul_f32 v76, v16, v50 :: v_dual_fmac_f32 v73, v3, v51
	s_waitcnt lgkmcnt(7)
	v_mul_f32_e32 v3, v45, v50
	v_add_nc_u32_e32 v85, 0x258, v46
	s_delay_alu instid0(VALU_DEP_3) | instskip(SKIP_1) | instid1(VALU_DEP_4)
	v_dual_mov_b32 v19, v28 :: v_dual_fmac_f32 v76, v49, v45
	v_mul_f32_e32 v45, v36, v62
	v_fma_f32 v88, v16, v49, -v3
	v_mul_f32_e32 v49, v14, v66
	v_mul_hi_u32 v28, 0x10624dd3, v85
	s_waitcnt lgkmcnt(2)
	v_mul_f32_e32 v52, v25, v56
	v_fmac_f32_e32 v45, v61, v7
	v_lshlrev_b64 v[18:19], 3, v[18:19]
	v_fmac_f32_e32 v49, v65, v27
	v_fma_f32 v50, v17, v51, -v0
	v_dual_mul_f32 v0, v7, v62 :: v_dual_add_nc_u32 v51, 0x3e8, v83
	v_mul_f32_e32 v7, v9, v64
	v_lshrrev_b32_e32 v75, 6, v28
	v_mul_f32_e32 v28, v27, v66
	s_delay_alu instid0(VALU_DEP_4) | instskip(SKIP_4) | instid1(VALU_DEP_3)
	v_mad_u64_u32 v[3:4], null, s12, v51, 0
	v_fma_f32 v36, v36, v61, -v0
	v_dual_mul_f32 v0, v22, v64 :: v_dual_sub_f32 v45, v47, v45
	v_fmac_f32_e32 v7, v63, v22
	v_add_co_u32 v18, vcc_lo, v84, v18
	v_fma_f32 v9, v9, v63, -v0
	v_mov_b32_e32 v0, v4
	v_fma_f32 v4, v14, v65, -v28
	v_sub_f32_e32 v7, v87, v7
	v_lshlrev_b64 v[16:17], 3, v[29:30]
	v_sub_f32_e32 v9, v89, v9
	v_mad_u64_u32 v[29:30], null, s13, v51, v[0:1]
	v_dual_sub_f32 v51, v35, v92 :: v_dual_sub_f32 v22, v34, v90
	v_mul_f32_e32 v14, v44, v54
	s_waitcnt lgkmcnt(1)
	v_sub_f32_e32 v0, v43, v86
	v_fma_f32 v47, v47, 2.0, -v45
	v_fma_f32 v65, v35, 2.0, -v51
	v_sub_f32_e32 v66, v80, v73
	v_fma_f32 v61, v15, v53, -v14
	v_mul_f32_e32 v15, v15, v54
	v_dual_sub_f32 v30, v81, v78 :: v_dual_sub_f32 v73, v76, v49
	v_mul_f32_e32 v14, v26, v68
	v_fma_f32 v62, v87, 2.0, -v7
	s_delay_alu instid0(VALU_DEP_4)
	v_fmac_f32_e32 v15, v53, v44
	v_mul_f32_e32 v53, v12, v56
	v_sub_f32_e32 v36, v91, v36
	v_fma_f32 v54, v13, v67, -v14
	v_add_f32_e32 v14, v0, v9
	v_fma_f32 v63, v43, 2.0, -v0
	v_fma_f32 v9, v89, 2.0, -v9
	v_sub_f32_e32 v43, v51, v45
	v_fma_f32 v64, v34, 2.0, -v22
	v_mul_f32_e32 v56, v13, v68
	v_fma_f32 v45, v81, 2.0, -v30
	v_fmac_f32_e32 v53, v25, v55
	v_mul_f32_e32 v81, v10, v6
	v_sub_f32_e32 v25, v64, v9
	v_fma_f32 v12, v12, v55, -v52
	v_mul_f32_e32 v55, v11, v60
	v_dual_sub_f32 v13, v22, v7 :: v_dual_sub_f32 v68, v33, v50
	v_dual_fmac_f32 v56, v67, v26 :: v_dual_fmac_f32 v81, v5, v23
	s_delay_alu instid0(VALU_DEP_3)
	v_dual_fmac_f32 v55, v24, v59 :: v_dual_add_f32 v44, v30, v36
	v_fma_f32 v36, v91, 2.0, -v36
	v_sub_f32_e32 v4, v88, v4
	v_mul_f32_e32 v67, v48, v58
	v_mul_f32_e32 v60, v24, v60
	;; [unrolled: 1-line block ×3, first 2 shown]
	v_fma_f32 v7, v0, 2.0, -v14
	v_sub_f32_e32 v49, v65, v36
	v_fma_f32 v0, v80, 2.0, -v66
	v_dual_sub_f32 v36, v82, v53 :: v_dual_sub_f32 v53, v61, v54
	v_sub_f32_e32 v54, v32, v12
	v_sub_f32_e32 v12, v15, v56
	v_mul_f32_e32 v78, v23, v6
	v_fma_f32 v6, v22, 2.0, -v13
	v_fma_f32 v22, v76, 2.0, -v73
	v_sub_f32_e32 v50, v45, v47
	v_fma_f32 v24, v8, v57, -v67
	v_fmac_f32_e32 v58, v57, v48
	v_add_f32_e32 v48, v36, v53
	v_sub_f32_e32 v23, v0, v22
	v_fma_f32 v9, v45, 2.0, -v50
	v_sub_f32_e32 v47, v54, v12
	v_fma_f32 v56, v10, v5, -v78
	v_sub_f32_e32 v26, v63, v62
	v_fma_f32 v45, v61, 2.0, -v53
	s_waitcnt lgkmcnt(0)
	v_sub_f32_e32 v53, v74, v55
	v_fma_f32 v59, v11, v59, -v60
	v_fma_f32 v34, v51, 2.0, -v43
	v_sub_f32_e32 v51, v68, v73
	v_fma_f32 v35, v30, 2.0, -v44
	v_fma_f32 v30, v33, 2.0, -v68
	;; [unrolled: 1-line block ×4, first 2 shown]
	v_sub_f32_e32 v15, v24, v56
	v_add_f32_e32 v52, v66, v4
	v_fma_f32 v5, v63, 2.0, -v26
	v_fma_f32 v4, v64, 2.0, -v25
	v_dual_sub_f32 v55, v31, v59 :: v_dual_sub_f32 v56, v58, v81
	s_clause 0x3
	global_store_b64 v[37:38], v[4:5], off
	global_store_b64 v[1:2], v[6:7], off
	;; [unrolled: 1-line block ×4, first 2 shown]
	v_fma_f32 v2, v74, 2.0, -v53
	v_fma_f32 v4, v58, 2.0, -v56
	;; [unrolled: 1-line block ×4, first 2 shown]
	v_sub_f32_e32 v22, v30, v33
	v_mad_u64_u32 v[27:28], null, s12, v77, 0
	s_delay_alu instid0(VALU_DEP_3)
	v_dual_sub_f32 v21, v2, v4 :: v_dual_sub_f32 v20, v5, v7
	v_dual_add_f32 v15, v53, v15 :: v_dual_sub_f32 v14, v55, v56
	v_add_co_ci_u32_e32 v19, vcc_lo, v79, v19, vcc_lo
	v_add_co_u32 v41, vcc_lo, v84, v41
	v_mov_b32_e32 v4, v29
	v_add_co_ci_u32_e32 v42, vcc_lo, v79, v42, vcc_lo
	v_fma_f32 v1, v0, 2.0, -v23
	v_fma_f32 v0, v30, 2.0, -v22
	;; [unrolled: 1-line block ×6, first 2 shown]
	v_add_co_u32 v16, vcc_lo, v84, v16
	v_lshlrev_b64 v[3:4], 3, v[3:4]
	v_add_co_ci_u32_e32 v17, vcc_lo, v79, v17, vcc_lo
	v_mov_b32_e32 v2, v28
	v_fma_f32 v33, v82, 2.0, -v36
	s_clause 0x2
	global_store_b64 v[71:72], v[30:31], off
	global_store_b64 v[18:19], v[24:25], off
	;; [unrolled: 1-line block ×3, first 2 shown]
	v_mul_u32_u24_e32 v7, 0x3e8, v75
	v_add_nc_u32_e32 v21, 0xbb8, v83
	v_fma_f32 v32, v32, 2.0, -v54
	v_lshlrev_b64 v[39:40], 3, v[39:40]
	global_store_b64 v[16:17], v[14:15], off
	v_mad_u64_u32 v[14:15], null, s13, v77, v[2:3]
	v_dual_sub_f32 v13, v33, v12 :: v_dual_sub_f32 v12, v32, v45
	v_sub_nc_u32_e32 v7, v85, v7
	v_add_co_u32 v18, vcc_lo, v84, v39
	s_delay_alu instid0(VALU_DEP_3) | instskip(NEXT) | instid1(VALU_DEP_4)
	v_fma_f32 v33, v33, 2.0, -v13
	v_fma_f32 v32, v32, 2.0, -v12
	v_add_co_ci_u32_e32 v19, vcc_lo, v79, v40, vcc_lo
	v_mad_u32_u24 v29, 0xfa0, v75, v7
	v_mov_b32_e32 v28, v14
	v_add_co_u32 v2, vcc_lo, v84, v3
	global_store_b64 v[18:19], v[32:33], off
	v_mad_u64_u32 v[17:18], null, s12, v29, 0
	v_lshlrev_b64 v[19:20], 3, v[27:28]
	v_fma_f32 v6, v36, 2.0, -v48
	v_fma_f32 v5, v54, 2.0, -v47
	v_mad_u64_u32 v[15:16], null, s12, v21, 0
	v_add_co_ci_u32_e32 v3, vcc_lo, v79, v4, vcc_lo
	v_add_nc_u32_e32 v14, 0x3e8, v29
	v_fma_f32 v11, v66, 2.0, -v52
	v_fma_f32 v10, v68, 2.0, -v51
	global_store_b64 v[2:3], v[5:6], off
	v_mov_b32_e32 v2, v18
	v_mad_u64_u32 v[24:25], null, s12, v14, 0
	v_add_co_u32 v3, vcc_lo, v84, v19
	v_mov_b32_e32 v4, v16
	v_fma_f32 v8, v65, 2.0, -v49
	s_delay_alu instid0(VALU_DEP_3) | instskip(NEXT) | instid1(VALU_DEP_3)
	v_mad_u64_u32 v[6:7], null, s13, v29, v[2:3]
	v_mad_u64_u32 v[26:27], null, s13, v21, v[4:5]
	v_mov_b32_e32 v5, v25
	v_add_nc_u32_e32 v21, 0x320, v46
	v_add_co_ci_u32_e32 v4, vcc_lo, v79, v20, vcc_lo
	v_mov_b32_e32 v18, v6
	s_delay_alu instid0(VALU_DEP_4) | instskip(NEXT) | instid1(VALU_DEP_4)
	v_mad_u64_u32 v[19:20], null, s13, v14, v[5:6]
	v_mul_hi_u32 v7, 0x10624dd3, v21
	v_add_nc_u32_e32 v20, 0x7d0, v29
	v_mov_b32_e32 v16, v26
	global_store_b64 v[3:4], v[12:13], off
	v_mad_u64_u32 v[4:5], null, s12, v20, 0
	v_lshlrev_b64 v[2:3], 3, v[15:16]
	v_lshrrev_b32_e32 v16, 6, v7
	v_lshlrev_b64 v[6:7], 3, v[17:18]
	v_mov_b32_e32 v25, v19
	v_add_nc_u32_e32 v17, 0xbb8, v29
	v_add_co_u32 v2, vcc_lo, v84, v2
	s_delay_alu instid0(VALU_DEP_4) | instskip(SKIP_4) | instid1(VALU_DEP_4)
	v_mad_u64_u32 v[14:15], null, s13, v20, v[5:6]
	v_mul_u32_u24_e32 v5, 0x3e8, v16
	v_lshlrev_b64 v[12:13], 3, v[24:25]
	v_add_co_ci_u32_e32 v3, vcc_lo, v79, v3, vcc_lo
	v_add_co_u32 v6, vcc_lo, v84, v6
	v_sub_nc_u32_e32 v18, v21, v5
	v_add_co_ci_u32_e32 v7, vcc_lo, v79, v7, vcc_lo
	v_add_co_u32 v12, vcc_lo, v84, v12
	s_delay_alu instid0(VALU_DEP_3) | instskip(SKIP_3) | instid1(VALU_DEP_4)
	v_mad_u32_u24 v16, 0xfa0, v16, v18
	v_mov_b32_e32 v5, v14
	v_mad_u64_u32 v[14:15], null, s12, v17, 0
	v_add_co_ci_u32_e32 v13, vcc_lo, v79, v13, vcc_lo
	v_add_nc_u32_e32 v18, 0x3e8, v16
	s_clause 0x2
	global_store_b64 v[2:3], v[47:48], off
	global_store_b64 v[6:7], v[0:1], off
	;; [unrolled: 1-line block ×3, first 2 shown]
	v_lshlrev_b64 v[0:1], 3, v[4:5]
	v_mad_u64_u32 v[2:3], null, s12, v16, 0
	v_mad_u64_u32 v[5:6], null, s12, v18, 0
	v_mov_b32_e32 v4, v15
	s_delay_alu instid0(VALU_DEP_4) | instskip(SKIP_2) | instid1(VALU_DEP_4)
	v_add_co_u32 v0, vcc_lo, v84, v0
	v_add_nc_u32_e32 v20, 0xbb8, v16
	v_add_co_ci_u32_e32 v1, vcc_lo, v79, v1, vcc_lo
	v_mad_u64_u32 v[10:11], null, s13, v17, v[4:5]
	v_add_nc_u32_e32 v4, 0x7d0, v16
	global_store_b64 v[0:1], v[22:23], off
	v_mad_u64_u32 v[11:12], null, s13, v16, v[3:4]
	v_mad_u64_u32 v[12:13], null, s12, v4, 0
	v_mov_b32_e32 v3, v6
	v_mad_u64_u32 v[16:17], null, s12, v20, 0
	v_mov_b32_e32 v15, v10
	s_delay_alu instid0(VALU_DEP_3) | instskip(SKIP_1) | instid1(VALU_DEP_3)
	v_mad_u64_u32 v[6:7], null, s13, v18, v[3:4]
	v_dual_mov_b32 v0, v13 :: v_dual_mov_b32 v3, v11
	v_lshlrev_b64 v[13:14], 3, v[14:15]
	s_delay_alu instid0(VALU_DEP_2) | instskip(NEXT) | instid1(VALU_DEP_3)
	v_mad_u64_u32 v[10:11], null, s13, v4, v[0:1]
	v_lshlrev_b64 v[1:2], 3, v[2:3]
	v_mov_b32_e32 v0, v17
	s_delay_alu instid0(VALU_DEP_4) | instskip(SKIP_1) | instid1(VALU_DEP_3)
	v_add_co_u32 v18, vcc_lo, v84, v13
	v_add_co_ci_u32_e32 v19, vcc_lo, v79, v14, vcc_lo
	v_mad_u64_u32 v[3:4], null, s13, v20, v[0:1]
	v_lshlrev_b64 v[4:5], 3, v[5:6]
	v_mov_b32_e32 v13, v10
	v_add_co_u32 v0, vcc_lo, v84, v1
	v_add_co_ci_u32_e32 v1, vcc_lo, v79, v2, vcc_lo
	v_mov_b32_e32 v17, v3
	s_delay_alu instid0(VALU_DEP_4) | instskip(SKIP_2) | instid1(VALU_DEP_4)
	v_lshlrev_b64 v[6:7], 3, v[12:13]
	v_add_co_u32 v2, vcc_lo, v84, v4
	v_add_co_ci_u32_e32 v3, vcc_lo, v79, v5, vcc_lo
	v_lshlrev_b64 v[4:5], 3, v[16:17]
	s_delay_alu instid0(VALU_DEP_4) | instskip(SKIP_1) | instid1(VALU_DEP_3)
	v_add_co_u32 v6, vcc_lo, v84, v6
	v_add_co_ci_u32_e32 v7, vcc_lo, v79, v7, vcc_lo
	v_add_co_u32 v4, vcc_lo, v84, v4
	s_delay_alu instid0(VALU_DEP_4)
	v_add_co_ci_u32_e32 v5, vcc_lo, v79, v5, vcc_lo
	s_clause 0x4
	global_store_b64 v[18:19], v[51:52], off
	global_store_b64 v[0:1], v[8:9], off
	;; [unrolled: 1-line block ×5, first 2 shown]
.LBB0_15:
	s_nop 0
	s_sendmsg sendmsg(MSG_DEALLOC_VGPRS)
	s_endpgm
	.section	.rodata,"a",@progbits
	.p2align	6, 0x0
	.amdhsa_kernel fft_rtc_fwd_len4000_factors_10_10_10_4_wgs_200_tpt_200_halfLds_sp_op_CI_CI_sbrr_dirReg
		.amdhsa_group_segment_fixed_size 0
		.amdhsa_private_segment_fixed_size 0
		.amdhsa_kernarg_size 104
		.amdhsa_user_sgpr_count 15
		.amdhsa_user_sgpr_dispatch_ptr 0
		.amdhsa_user_sgpr_queue_ptr 0
		.amdhsa_user_sgpr_kernarg_segment_ptr 1
		.amdhsa_user_sgpr_dispatch_id 0
		.amdhsa_user_sgpr_private_segment_size 0
		.amdhsa_wavefront_size32 1
		.amdhsa_uses_dynamic_stack 0
		.amdhsa_enable_private_segment 0
		.amdhsa_system_sgpr_workgroup_id_x 1
		.amdhsa_system_sgpr_workgroup_id_y 0
		.amdhsa_system_sgpr_workgroup_id_z 0
		.amdhsa_system_sgpr_workgroup_info 0
		.amdhsa_system_vgpr_workitem_id 0
		.amdhsa_next_free_vgpr 93
		.amdhsa_next_free_sgpr 31
		.amdhsa_reserve_vcc 1
		.amdhsa_float_round_mode_32 0
		.amdhsa_float_round_mode_16_64 0
		.amdhsa_float_denorm_mode_32 3
		.amdhsa_float_denorm_mode_16_64 3
		.amdhsa_dx10_clamp 1
		.amdhsa_ieee_mode 1
		.amdhsa_fp16_overflow 0
		.amdhsa_workgroup_processor_mode 1
		.amdhsa_memory_ordered 1
		.amdhsa_forward_progress 0
		.amdhsa_shared_vgpr_count 0
		.amdhsa_exception_fp_ieee_invalid_op 0
		.amdhsa_exception_fp_denorm_src 0
		.amdhsa_exception_fp_ieee_div_zero 0
		.amdhsa_exception_fp_ieee_overflow 0
		.amdhsa_exception_fp_ieee_underflow 0
		.amdhsa_exception_fp_ieee_inexact 0
		.amdhsa_exception_int_div_zero 0
	.end_amdhsa_kernel
	.text
.Lfunc_end0:
	.size	fft_rtc_fwd_len4000_factors_10_10_10_4_wgs_200_tpt_200_halfLds_sp_op_CI_CI_sbrr_dirReg, .Lfunc_end0-fft_rtc_fwd_len4000_factors_10_10_10_4_wgs_200_tpt_200_halfLds_sp_op_CI_CI_sbrr_dirReg
                                        ; -- End function
	.section	.AMDGPU.csdata,"",@progbits
; Kernel info:
; codeLenInByte = 14404
; NumSgprs: 33
; NumVgprs: 93
; ScratchSize: 0
; MemoryBound: 0
; FloatMode: 240
; IeeeMode: 1
; LDSByteSize: 0 bytes/workgroup (compile time only)
; SGPRBlocks: 4
; VGPRBlocks: 11
; NumSGPRsForWavesPerEU: 33
; NumVGPRsForWavesPerEU: 93
; Occupancy: 16
; WaveLimiterHint : 1
; COMPUTE_PGM_RSRC2:SCRATCH_EN: 0
; COMPUTE_PGM_RSRC2:USER_SGPR: 15
; COMPUTE_PGM_RSRC2:TRAP_HANDLER: 0
; COMPUTE_PGM_RSRC2:TGID_X_EN: 1
; COMPUTE_PGM_RSRC2:TGID_Y_EN: 0
; COMPUTE_PGM_RSRC2:TGID_Z_EN: 0
; COMPUTE_PGM_RSRC2:TIDIG_COMP_CNT: 0
	.text
	.p2alignl 7, 3214868480
	.fill 96, 4, 3214868480
	.type	__hip_cuid_d341d40490c1c645,@object ; @__hip_cuid_d341d40490c1c645
	.section	.bss,"aw",@nobits
	.globl	__hip_cuid_d341d40490c1c645
__hip_cuid_d341d40490c1c645:
	.byte	0                               ; 0x0
	.size	__hip_cuid_d341d40490c1c645, 1

	.ident	"AMD clang version 19.0.0git (https://github.com/RadeonOpenCompute/llvm-project roc-6.4.0 25133 c7fe45cf4b819c5991fe208aaa96edf142730f1d)"
	.section	".note.GNU-stack","",@progbits
	.addrsig
	.addrsig_sym __hip_cuid_d341d40490c1c645
	.amdgpu_metadata
---
amdhsa.kernels:
  - .args:
      - .actual_access:  read_only
        .address_space:  global
        .offset:         0
        .size:           8
        .value_kind:     global_buffer
      - .offset:         8
        .size:           8
        .value_kind:     by_value
      - .actual_access:  read_only
        .address_space:  global
        .offset:         16
        .size:           8
        .value_kind:     global_buffer
      - .actual_access:  read_only
        .address_space:  global
        .offset:         24
        .size:           8
        .value_kind:     global_buffer
      - .actual_access:  read_only
        .address_space:  global
        .offset:         32
        .size:           8
        .value_kind:     global_buffer
      - .offset:         40
        .size:           8
        .value_kind:     by_value
      - .actual_access:  read_only
        .address_space:  global
        .offset:         48
        .size:           8
        .value_kind:     global_buffer
      - .actual_access:  read_only
        .address_space:  global
        .offset:         56
        .size:           8
        .value_kind:     global_buffer
      - .offset:         64
        .size:           4
        .value_kind:     by_value
      - .actual_access:  read_only
        .address_space:  global
        .offset:         72
        .size:           8
        .value_kind:     global_buffer
      - .actual_access:  read_only
        .address_space:  global
        .offset:         80
        .size:           8
        .value_kind:     global_buffer
      - .actual_access:  read_only
        .address_space:  global
        .offset:         88
        .size:           8
        .value_kind:     global_buffer
      - .actual_access:  write_only
        .address_space:  global
        .offset:         96
        .size:           8
        .value_kind:     global_buffer
    .group_segment_fixed_size: 0
    .kernarg_segment_align: 8
    .kernarg_segment_size: 104
    .language:       OpenCL C
    .language_version:
      - 2
      - 0
    .max_flat_workgroup_size: 200
    .name:           fft_rtc_fwd_len4000_factors_10_10_10_4_wgs_200_tpt_200_halfLds_sp_op_CI_CI_sbrr_dirReg
    .private_segment_fixed_size: 0
    .sgpr_count:     33
    .sgpr_spill_count: 0
    .symbol:         fft_rtc_fwd_len4000_factors_10_10_10_4_wgs_200_tpt_200_halfLds_sp_op_CI_CI_sbrr_dirReg.kd
    .uniform_work_group_size: 1
    .uses_dynamic_stack: false
    .vgpr_count:     93
    .vgpr_spill_count: 0
    .wavefront_size: 32
    .workgroup_processor_mode: 1
amdhsa.target:   amdgcn-amd-amdhsa--gfx1100
amdhsa.version:
  - 1
  - 2
...

	.end_amdgpu_metadata
